;; amdgpu-corpus repo=ROCm/rocFFT kind=compiled arch=gfx906 opt=O3
	.text
	.amdgcn_target "amdgcn-amd-amdhsa--gfx906"
	.amdhsa_code_object_version 6
	.protected	fft_rtc_fwd_len1088_factors_17_4_4_2_2_wgs_204_tpt_68_halfLds_dp_op_CI_CI_sbrr_dirReg ; -- Begin function fft_rtc_fwd_len1088_factors_17_4_4_2_2_wgs_204_tpt_68_halfLds_dp_op_CI_CI_sbrr_dirReg
	.globl	fft_rtc_fwd_len1088_factors_17_4_4_2_2_wgs_204_tpt_68_halfLds_dp_op_CI_CI_sbrr_dirReg
	.p2align	8
	.type	fft_rtc_fwd_len1088_factors_17_4_4_2_2_wgs_204_tpt_68_halfLds_dp_op_CI_CI_sbrr_dirReg,@function
fft_rtc_fwd_len1088_factors_17_4_4_2_2_wgs_204_tpt_68_halfLds_dp_op_CI_CI_sbrr_dirReg: ; @fft_rtc_fwd_len1088_factors_17_4_4_2_2_wgs_204_tpt_68_halfLds_dp_op_CI_CI_sbrr_dirReg
; %bb.0:
	s_load_dwordx4 s[16:19], s[4:5], 0x18
	s_load_dwordx4 s[12:15], s[4:5], 0x0
	;; [unrolled: 1-line block ×3, first 2 shown]
	v_mul_u32_u24_e32 v1, 0x3c4, v0
	v_lshrrev_b32_e32 v1, 16, v1
	s_waitcnt lgkmcnt(0)
	s_load_dwordx2 s[22:23], s[16:17], 0x0
	s_load_dwordx2 s[20:21], s[18:19], 0x0
	v_mad_u64_u32 v[68:69], s[0:1], s6, 3, v[1:2]
	v_mov_b32_e32 v1, 0
	v_mov_b32_e32 v4, 0
	;; [unrolled: 1-line block ×3, first 2 shown]
	v_cmp_lt_u64_e64 s[0:1], s[14:15], 2
	v_mov_b32_e32 v5, 0
	v_mov_b32_e32 v97, v5
	;; [unrolled: 1-line block ×3, first 2 shown]
	s_and_b64 vcc, exec, s[0:1]
	v_mov_b32_e32 v96, v4
	v_mov_b32_e32 v100, v68
	s_cbranch_vccnz .LBB0_8
; %bb.1:
	s_load_dwordx2 s[0:1], s[4:5], 0x10
	s_add_u32 s2, s18, 8
	s_addc_u32 s3, s19, 0
	s_add_u32 s6, s16, 8
	v_mov_b32_e32 v4, 0
	s_addc_u32 s7, s17, 0
	v_mov_b32_e32 v5, 0
	s_waitcnt lgkmcnt(0)
	s_add_u32 s24, s0, 8
	v_mov_b32_e32 v97, v5
	v_mov_b32_e32 v6, v68
	s_addc_u32 s25, s1, 0
	s_mov_b64 s[26:27], 1
	v_mov_b32_e32 v96, v4
	v_mov_b32_e32 v7, v69
.LBB0_2:                                ; =>This Inner Loop Header: Depth=1
	s_load_dwordx2 s[28:29], s[24:25], 0x0
                                        ; implicit-def: $vgpr100_vgpr101
	s_waitcnt lgkmcnt(0)
	v_or_b32_e32 v2, s29, v7
	v_cmp_ne_u64_e32 vcc, 0, v[1:2]
	s_and_saveexec_b64 s[0:1], vcc
	s_xor_b64 s[30:31], exec, s[0:1]
	s_cbranch_execz .LBB0_4
; %bb.3:                                ;   in Loop: Header=BB0_2 Depth=1
	v_cvt_f32_u32_e32 v2, s28
	v_cvt_f32_u32_e32 v3, s29
	s_sub_u32 s0, 0, s28
	s_subb_u32 s1, 0, s29
	v_mac_f32_e32 v2, 0x4f800000, v3
	v_rcp_f32_e32 v2, v2
	v_mul_f32_e32 v2, 0x5f7ffffc, v2
	v_mul_f32_e32 v3, 0x2f800000, v2
	v_trunc_f32_e32 v3, v3
	v_mac_f32_e32 v2, 0xcf800000, v3
	v_cvt_u32_f32_e32 v3, v3
	v_cvt_u32_f32_e32 v2, v2
	v_mul_lo_u32 v8, s0, v3
	v_mul_hi_u32 v9, s0, v2
	v_mul_lo_u32 v11, s1, v2
	v_mul_lo_u32 v10, s0, v2
	v_add_u32_e32 v8, v9, v8
	v_add_u32_e32 v8, v8, v11
	v_mul_hi_u32 v9, v2, v10
	v_mul_lo_u32 v11, v2, v8
	v_mul_hi_u32 v13, v2, v8
	v_mul_hi_u32 v12, v3, v10
	v_mul_lo_u32 v10, v3, v10
	v_mul_hi_u32 v14, v3, v8
	v_add_co_u32_e32 v9, vcc, v9, v11
	v_addc_co_u32_e32 v11, vcc, 0, v13, vcc
	v_mul_lo_u32 v8, v3, v8
	v_add_co_u32_e32 v9, vcc, v9, v10
	v_addc_co_u32_e32 v9, vcc, v11, v12, vcc
	v_addc_co_u32_e32 v10, vcc, 0, v14, vcc
	v_add_co_u32_e32 v8, vcc, v9, v8
	v_addc_co_u32_e32 v9, vcc, 0, v10, vcc
	v_add_co_u32_e32 v2, vcc, v2, v8
	v_addc_co_u32_e32 v3, vcc, v3, v9, vcc
	v_mul_lo_u32 v8, s0, v3
	v_mul_hi_u32 v9, s0, v2
	v_mul_lo_u32 v10, s1, v2
	v_mul_lo_u32 v11, s0, v2
	v_add_u32_e32 v8, v9, v8
	v_add_u32_e32 v8, v8, v10
	v_mul_lo_u32 v12, v2, v8
	v_mul_hi_u32 v13, v2, v11
	v_mul_hi_u32 v14, v2, v8
	;; [unrolled: 1-line block ×3, first 2 shown]
	v_mul_lo_u32 v11, v3, v11
	v_mul_hi_u32 v9, v3, v8
	v_add_co_u32_e32 v12, vcc, v13, v12
	v_addc_co_u32_e32 v13, vcc, 0, v14, vcc
	v_mul_lo_u32 v8, v3, v8
	v_add_co_u32_e32 v11, vcc, v12, v11
	v_addc_co_u32_e32 v10, vcc, v13, v10, vcc
	v_addc_co_u32_e32 v9, vcc, 0, v9, vcc
	v_add_co_u32_e32 v8, vcc, v10, v8
	v_addc_co_u32_e32 v9, vcc, 0, v9, vcc
	v_add_co_u32_e32 v8, vcc, v2, v8
	v_addc_co_u32_e32 v9, vcc, v3, v9, vcc
	v_mad_u64_u32 v[2:3], s[0:1], v6, v9, 0
	v_mul_hi_u32 v10, v6, v8
	v_add_co_u32_e32 v10, vcc, v10, v2
	v_addc_co_u32_e32 v11, vcc, 0, v3, vcc
	v_mad_u64_u32 v[2:3], s[0:1], v7, v8, 0
	v_mad_u64_u32 v[8:9], s[0:1], v7, v9, 0
	v_add_co_u32_e32 v2, vcc, v10, v2
	v_addc_co_u32_e32 v2, vcc, v11, v3, vcc
	v_addc_co_u32_e32 v3, vcc, 0, v9, vcc
	v_add_co_u32_e32 v8, vcc, v2, v8
	v_addc_co_u32_e32 v9, vcc, 0, v3, vcc
	v_mul_lo_u32 v10, s29, v8
	v_mul_lo_u32 v11, s28, v9
	v_mad_u64_u32 v[2:3], s[0:1], s28, v8, 0
	v_add3_u32 v3, v3, v11, v10
	v_sub_u32_e32 v10, v7, v3
	v_mov_b32_e32 v11, s29
	v_sub_co_u32_e32 v2, vcc, v6, v2
	v_subb_co_u32_e64 v10, s[0:1], v10, v11, vcc
	v_subrev_co_u32_e64 v11, s[0:1], s28, v2
	v_subbrev_co_u32_e64 v10, s[0:1], 0, v10, s[0:1]
	v_cmp_le_u32_e64 s[0:1], s29, v10
	v_cndmask_b32_e64 v12, 0, -1, s[0:1]
	v_cmp_le_u32_e64 s[0:1], s28, v11
	v_cndmask_b32_e64 v11, 0, -1, s[0:1]
	v_cmp_eq_u32_e64 s[0:1], s29, v10
	v_cndmask_b32_e64 v10, v12, v11, s[0:1]
	v_add_co_u32_e64 v11, s[0:1], 2, v8
	v_addc_co_u32_e64 v12, s[0:1], 0, v9, s[0:1]
	v_add_co_u32_e64 v13, s[0:1], 1, v8
	v_addc_co_u32_e64 v14, s[0:1], 0, v9, s[0:1]
	v_subb_co_u32_e32 v3, vcc, v7, v3, vcc
	v_cmp_ne_u32_e64 s[0:1], 0, v10
	v_cmp_le_u32_e32 vcc, s29, v3
	v_cndmask_b32_e64 v10, v14, v12, s[0:1]
	v_cndmask_b32_e64 v12, 0, -1, vcc
	v_cmp_le_u32_e32 vcc, s28, v2
	v_cndmask_b32_e64 v2, 0, -1, vcc
	v_cmp_eq_u32_e32 vcc, s29, v3
	v_cndmask_b32_e32 v2, v12, v2, vcc
	v_cmp_ne_u32_e32 vcc, 0, v2
	v_cndmask_b32_e64 v2, v13, v11, s[0:1]
	v_cndmask_b32_e32 v101, v9, v10, vcc
	v_cndmask_b32_e32 v100, v8, v2, vcc
.LBB0_4:                                ;   in Loop: Header=BB0_2 Depth=1
	s_andn2_saveexec_b64 s[0:1], s[30:31]
	s_cbranch_execz .LBB0_6
; %bb.5:                                ;   in Loop: Header=BB0_2 Depth=1
	v_cvt_f32_u32_e32 v2, s28
	s_sub_i32 s30, 0, s28
	v_mov_b32_e32 v101, v1
	v_rcp_iflag_f32_e32 v2, v2
	v_mul_f32_e32 v2, 0x4f7ffffe, v2
	v_cvt_u32_f32_e32 v2, v2
	v_mul_lo_u32 v3, s30, v2
	v_mul_hi_u32 v3, v2, v3
	v_add_u32_e32 v2, v2, v3
	v_mul_hi_u32 v2, v6, v2
	v_mul_lo_u32 v3, v2, s28
	v_add_u32_e32 v8, 1, v2
	v_sub_u32_e32 v3, v6, v3
	v_subrev_u32_e32 v9, s28, v3
	v_cmp_le_u32_e32 vcc, s28, v3
	v_cndmask_b32_e32 v3, v3, v9, vcc
	v_cndmask_b32_e32 v2, v2, v8, vcc
	v_add_u32_e32 v8, 1, v2
	v_cmp_le_u32_e32 vcc, s28, v3
	v_cndmask_b32_e32 v100, v2, v8, vcc
.LBB0_6:                                ;   in Loop: Header=BB0_2 Depth=1
	s_or_b64 exec, exec, s[0:1]
	v_mul_lo_u32 v8, v101, s28
	v_mul_lo_u32 v9, v100, s29
	v_mad_u64_u32 v[2:3], s[0:1], v100, s28, 0
	s_load_dwordx2 s[0:1], s[6:7], 0x0
	s_load_dwordx2 s[28:29], s[2:3], 0x0
	v_add3_u32 v3, v3, v9, v8
	v_sub_co_u32_e32 v2, vcc, v6, v2
	v_subb_co_u32_e32 v3, vcc, v7, v3, vcc
	s_waitcnt lgkmcnt(0)
	v_mul_lo_u32 v6, s0, v3
	v_mul_lo_u32 v7, s1, v2
	v_mad_u64_u32 v[4:5], s[0:1], s0, v2, v[4:5]
	v_mul_lo_u32 v3, s28, v3
	v_mul_lo_u32 v8, s29, v2
	v_mad_u64_u32 v[96:97], s[0:1], s28, v2, v[96:97]
	s_add_u32 s26, s26, 1
	s_addc_u32 s27, s27, 0
	s_add_u32 s2, s2, 8
	v_add3_u32 v97, v8, v97, v3
	s_addc_u32 s3, s3, 0
	v_mov_b32_e32 v2, s14
	s_add_u32 s6, s6, 8
	v_mov_b32_e32 v3, s15
	s_addc_u32 s7, s7, 0
	v_cmp_ge_u64_e32 vcc, s[26:27], v[2:3]
	s_add_u32 s24, s24, 8
	v_add3_u32 v5, v7, v5, v6
	s_addc_u32 s25, s25, 0
	s_cbranch_vccnz .LBB0_8
; %bb.7:                                ;   in Loop: Header=BB0_2 Depth=1
	v_mov_b32_e32 v6, v100
	v_mov_b32_e32 v7, v101
	s_branch .LBB0_2
.LBB0_8:
	s_load_dwordx2 s[0:1], s[4:5], 0x28
	s_mov_b32 s4, 0x3c3c3c4
	v_mul_hi_u32 v1, v0, s4
	s_lshl_b64 s[2:3], s[14:15], 3
	s_add_u32 s4, s18, s2
	s_waitcnt lgkmcnt(0)
	v_cmp_gt_u64_e32 vcc, s[0:1], v[100:101]
	v_mul_u32_u24_e32 v1, 0x44, v1
	v_sub_u32_e32 v98, v0, v1
	v_cmp_gt_u32_e64 s[0:1], 64, v98
	s_addc_u32 s5, s19, s3
	s_and_b64 s[14:15], vcc, s[0:1]
                                        ; implicit-def: $vgpr66_vgpr67
                                        ; implicit-def: $vgpr62_vgpr63
                                        ; implicit-def: $vgpr26_vgpr27
                                        ; implicit-def: $vgpr18_vgpr19
                                        ; implicit-def: $vgpr2_vgpr3
                                        ; implicit-def: $vgpr10_vgpr11
                                        ; implicit-def: $vgpr34_vgpr35
                                        ; implicit-def: $vgpr42_vgpr43
                                        ; implicit-def: $vgpr54_vgpr55
                                        ; implicit-def: $vgpr58_vgpr59
                                        ; implicit-def: $vgpr30_vgpr31
                                        ; implicit-def: $vgpr22_vgpr23
                                        ; implicit-def: $vgpr6_vgpr7
                                        ; implicit-def: $vgpr14_vgpr15
                                        ; implicit-def: $vgpr38_vgpr39
                                        ; implicit-def: $vgpr46_vgpr47
                                        ; implicit-def: $vgpr50_vgpr51
	s_and_saveexec_b64 s[6:7], s[14:15]
	s_cbranch_execz .LBB0_10
; %bb.9:
	s_add_u32 s2, s16, s2
	s_addc_u32 s3, s17, s3
	s_load_dwordx2 s[2:3], s[2:3], 0x0
	v_mad_u64_u32 v[0:1], s[14:15], s22, v98, 0
	s_waitcnt lgkmcnt(0)
	v_mul_lo_u32 v8, s3, v100
	v_mul_lo_u32 v9, s2, v101
	v_mad_u64_u32 v[2:3], s[2:3], s2, v100, 0
	v_mad_u64_u32 v[6:7], s[2:3], s23, v98, v[1:2]
	v_add3_u32 v3, v3, v9, v8
	v_lshlrev_b64 v[2:3], 4, v[2:3]
	v_mov_b32_e32 v1, v6
	v_mov_b32_e32 v6, s9
	v_add_co_u32_e64 v7, s[2:3], s8, v2
	v_or_b32_e32 v8, 64, v98
	v_addc_co_u32_e64 v6, s[2:3], v6, v3, s[2:3]
	v_lshlrev_b64 v[2:3], 4, v[4:5]
	v_mad_u64_u32 v[4:5], s[2:3], s22, v8, 0
	v_add_co_u32_e64 v9, s[2:3], v7, v2
	v_mov_b32_e32 v2, v5
	v_addc_co_u32_e64 v10, s[2:3], v6, v3, s[2:3]
	v_mad_u64_u32 v[2:3], s[2:3], s23, v8, v[2:3]
	v_or_b32_e32 v3, 0x80, v98
	v_mad_u64_u32 v[6:7], s[2:3], s22, v3, 0
	v_lshlrev_b64 v[0:1], 4, v[0:1]
	v_mov_b32_e32 v5, v2
	v_add_co_u32_e64 v52, s[2:3], v9, v0
	v_mov_b32_e32 v2, v7
	v_addc_co_u32_e64 v53, s[2:3], v10, v1, s[2:3]
	v_lshlrev_b64 v[0:1], 4, v[4:5]
	v_mad_u64_u32 v[2:3], s[2:3], s23, v3, v[2:3]
	v_or_b32_e32 v5, 0xc0, v98
	v_mad_u64_u32 v[3:4], s[2:3], s22, v5, 0
	v_add_co_u32_e64 v54, s[2:3], v9, v0
	v_mov_b32_e32 v7, v2
	v_mov_b32_e32 v2, v4
	v_addc_co_u32_e64 v55, s[2:3], v10, v1, s[2:3]
	v_lshlrev_b64 v[0:1], 4, v[6:7]
	v_mad_u64_u32 v[4:5], s[2:3], s23, v5, v[2:3]
	v_or_b32_e32 v7, 0x100, v98
	v_mad_u64_u32 v[5:6], s[2:3], s22, v7, 0
	v_add_co_u32_e64 v56, s[2:3], v9, v0
	v_mov_b32_e32 v2, v6
	v_addc_co_u32_e64 v57, s[2:3], v10, v1, s[2:3]
	v_lshlrev_b64 v[0:1], 4, v[3:4]
	v_mad_u64_u32 v[2:3], s[2:3], s23, v7, v[2:3]
	v_or_b32_e32 v7, 0x140, v98
	v_mad_u64_u32 v[3:4], s[2:3], s22, v7, 0
	v_add_co_u32_e64 v58, s[2:3], v9, v0
	v_mov_b32_e32 v6, v2
	v_mov_b32_e32 v2, v4
	v_addc_co_u32_e64 v59, s[2:3], v10, v1, s[2:3]
	v_lshlrev_b64 v[0:1], 4, v[5:6]
	v_mad_u64_u32 v[4:5], s[2:3], s23, v7, v[2:3]
	v_or_b32_e32 v7, 0x180, v98
	v_mad_u64_u32 v[5:6], s[2:3], s22, v7, 0
	;; [unrolled: 15-line block ×7, first 2 shown]
	v_add_co_u32_e64 v89, s[2:3], v9, v0
	v_mov_b32_e32 v2, v6
	v_addc_co_u32_e64 v90, s[2:3], v10, v1, s[2:3]
	v_lshlrev_b64 v[0:1], 4, v[3:4]
	v_mad_u64_u32 v[2:3], s[2:3], s23, v7, v[2:3]
	v_add_co_u32_e64 v91, s[2:3], v9, v0
	v_mov_b32_e32 v6, v2
	v_addc_co_u32_e64 v92, s[2:3], v10, v1, s[2:3]
	v_lshlrev_b64 v[0:1], 4, v[5:6]
	v_add_co_u32_e64 v93, s[2:3], v9, v0
	v_addc_co_u32_e64 v94, s[2:3], v10, v1, s[2:3]
	global_load_dwordx4 v[48:51], v[52:53], off
	global_load_dwordx4 v[64:67], v[54:55], off
	;; [unrolled: 1-line block ×15, first 2 shown]
                                        ; kill: killed $vgpr85 killed $vgpr86
                                        ; kill: killed $vgpr69 killed $vgpr70
                                        ; kill: killed $vgpr87 killed $vgpr88
                                        ; kill: killed $vgpr71 killed $vgpr72
                                        ; kill: killed $vgpr89 killed $vgpr90
                                        ; kill: killed $vgpr73 killed $vgpr74
                                        ; kill: killed $vgpr75 killed $vgpr76
                                        ; kill: killed $vgpr77 killed $vgpr78
                                        ; kill: killed $vgpr52 killed $vgpr53
                                        ; kill: killed $vgpr79 killed $vgpr80
                                        ; kill: killed $vgpr54 killed $vgpr55
                                        ; kill: killed $vgpr81 killed $vgpr82
                                        ; kill: killed $vgpr56 killed $vgpr57
                                        ; kill: killed $vgpr83 killed $vgpr84
                                        ; kill: killed $vgpr58 killed $vgpr59
	global_load_dwordx4 v[56:59], v[91:92], off
	global_load_dwordx4 v[52:55], v[93:94], off
.LBB0_10:
	s_or_b64 exec, exec, s[6:7]
	s_mov_b32 s2, 0xaaaaaaab
	v_mul_hi_u32 v69, v68, s2
	v_lshrrev_b32_e32 v69, 1, v69
	v_lshl_add_u32 v69, v69, 1, v69
	v_sub_u32_e32 v68, v68, v69
	v_mul_u32_u24_e32 v68, 0x440, v68
	v_lshlrev_b32_e32 v99, 3, v68
	s_and_saveexec_b64 s[2:3], s[0:1]
	s_cbranch_execz .LBB0_12
; %bb.11:
	s_waitcnt vmcnt(15)
	v_add_f64 v[68:69], v[64:65], v[48:49]
	s_waitcnt vmcnt(0)
	v_add_f64 v[102:103], v[66:67], -v[54:55]
	s_mov_b32 s42, 0x5d8e7cdc
	s_mov_b32 s43, 0x3fd71e95
	;; [unrolled: 1-line block ×4, first 2 shown]
	v_add_f64 v[82:83], v[64:65], v[52:53]
	v_add_f64 v[104:105], v[62:63], -v[58:59]
	v_add_f64 v[68:69], v[60:61], v[68:69]
	v_mul_f64 v[90:91], v[102:103], s[48:49]
	s_mov_b32 s36, 0x2a9d6da3
	s_mov_b32 s6, 0x370991
	s_mov_b32 s37, 0x3fe58eea
	s_mov_b32 s41, 0xbfe58eea
	s_mov_b32 s7, 0x3fedd6d0
	s_mov_b32 s40, s36
	v_add_f64 v[68:69], v[44:45], v[68:69]
	v_add_f64 v[80:81], v[60:61], v[56:57]
	v_add_f64 v[106:107], v[46:47], -v[42:43]
	v_mul_f64 v[88:89], v[104:105], s[40:41]
	v_fma_f64 v[74:75], v[82:83], s[6:7], -v[90:91]
	s_mov_b32 s8, 0x75d4884
	s_mov_b32 s30, 0x7c9e640b
	;; [unrolled: 1-line block ×3, first 2 shown]
	v_add_f64 v[68:69], v[36:37], v[68:69]
	s_mov_b32 s31, 0x3feca52d
	s_mov_b32 s53, 0xbfeca52d
	;; [unrolled: 1-line block ×3, first 2 shown]
	v_add_f64 v[78:79], v[40:41], v[44:45]
	v_add_f64 v[108:109], v[38:39], -v[34:35]
	v_mul_f64 v[86:87], v[106:107], s[52:53]
	v_fma_f64 v[92:93], v[80:81], s[8:9], -v[88:89]
	v_add_f64 v[68:69], v[24:25], v[68:69]
	v_add_f64 v[74:75], v[74:75], v[48:49]
	s_mov_b32 s14, 0x2b2883cd
	s_mov_b32 s28, 0xeb564b22
	;; [unrolled: 1-line block ×6, first 2 shown]
	v_add_f64 v[70:71], v[16:17], v[68:69]
	v_add_f64 v[76:77], v[32:33], v[36:37]
	v_add_f64 v[110:111], v[26:27], -v[30:31]
	v_fma_f64 v[118:119], v[78:79], s[14:15], -v[86:87]
	v_add_f64 v[120:121], v[92:93], v[74:75]
	s_mov_b32 s16, 0x3259b75e
	s_mov_b32 s34, 0x923c349f
	;; [unrolled: 1-line block ×3, first 2 shown]
	v_add_f64 v[70:71], v[12:13], v[70:71]
	s_mov_b32 s35, 0xbfeec746
	v_mul_u32_u24_e32 v124, 0x88, v98
	v_add_f64 v[72:73], v[24:25], v[28:29]
	v_add_f64 v[112:113], v[18:19], -v[22:23]
	v_mul_f64 v[92:93], v[110:111], s[34:35]
	v_add_f64 v[118:119], v[118:119], v[120:121]
	s_mov_b32 s18, 0xc61f0d01
	v_add_f64 v[84:85], v[4:5], v[70:71]
	s_mov_b32 s38, 0x6c9a05f6
	s_mov_b32 s19, 0xbfd183b1
	;; [unrolled: 1-line block ×3, first 2 shown]
	v_add_f64 v[68:69], v[16:17], v[20:21]
	v_add_f64 v[114:115], v[14:15], -v[10:11]
	v_mul_f64 v[126:127], v[112:113], s[38:39]
	v_fma_f64 v[128:129], v[72:73], s[18:19], -v[92:93]
	v_add_f64 v[94:95], v[0:1], v[84:85]
	v_mul_f64 v[84:85], v[108:109], s[50:51]
	s_mov_b32 s22, 0x6ed5f1bb
	s_mov_b32 s46, 0x4363dd80
	;; [unrolled: 1-line block ×6, first 2 shown]
	v_add_f64 v[94:95], v[8:9], v[94:95]
	v_fma_f64 v[122:123], v[76:77], s[16:17], -v[84:85]
	s_mov_b32 s57, 0x3fc7851a
	s_mov_b32 s56, s44
	v_add_f64 v[70:71], v[8:9], v[12:13]
	v_add_f64 v[116:117], v[6:7], -v[2:3]
	v_mul_f64 v[132:133], v[114:115], s[46:47]
	v_fma_f64 v[134:135], v[68:69], s[22:23], -v[126:127]
	v_add_f64 v[120:121], v[20:21], v[94:95]
	v_add3_u32 v94, 0, v124, v99
	v_mul_f64 v[124:125], v[102:103], s[52:53]
	v_add_f64 v[118:119], v[122:123], v[118:119]
	v_mul_f64 v[122:123], v[104:105], s[38:39]
	s_mov_b32 s24, 0x910ea3b9
	s_mov_b32 s26, 0x7faef3
	;; [unrolled: 1-line block ×3, first 2 shown]
	v_add_f64 v[120:121], v[28:29], v[120:121]
	s_mov_b32 s27, 0xbfef7484
	v_fma_f64 v[130:131], v[82:83], s[14:15], -v[124:125]
	v_add_f64 v[118:119], v[128:129], v[118:119]
	v_mul_f64 v[128:129], v[106:107], s[56:57]
	v_fma_f64 v[136:137], v[80:81], s[22:23], -v[122:123]
	s_mov_b32 s55, 0x3feec746
	s_mov_b32 s54, s34
	v_add_f64 v[120:121], v[32:33], v[120:121]
	v_add_f64 v[74:75], v[0:1], v[4:5]
	;; [unrolled: 1-line block ×3, first 2 shown]
	v_mul_f64 v[138:139], v[116:117], s[44:45]
	v_fma_f64 v[140:141], v[70:71], s[24:25], -v[132:133]
	v_add_f64 v[118:119], v[134:135], v[118:119]
	v_mul_f64 v[134:135], v[102:103], s[40:41]
	v_mul_f64 v[142:143], v[108:109], s[54:55]
	v_add_f64 v[120:121], v[40:41], v[120:121]
	v_fma_f64 v[144:145], v[78:79], s[26:27], -v[128:129]
	v_add_f64 v[130:131], v[136:137], v[130:131]
	v_mul_f64 v[136:137], v[104:105], s[50:51]
	v_fma_f64 v[146:147], v[74:75], s[26:27], -v[138:139]
	v_add_f64 v[118:119], v[140:141], v[118:119]
	v_fma_f64 v[140:141], v[82:83], s[8:9], -v[134:135]
	v_mul_f64 v[148:149], v[110:111], s[36:37]
	v_add_f64 v[120:121], v[56:57], v[120:121]
	v_fma_f64 v[150:151], v[76:77], s[18:19], -v[142:143]
	v_add_f64 v[130:131], v[144:145], v[130:131]
	v_fma_f64 v[152:153], v[80:81], s[16:17], -v[136:137]
	v_mul_f64 v[144:145], v[102:103], s[34:35]
	v_add_f64 v[118:119], v[146:147], v[118:119]
	v_add_f64 v[140:141], v[140:141], v[48:49]
	v_mul_f64 v[146:147], v[106:107], s[38:39]
	v_add_f64 v[120:121], v[52:53], v[120:121]
	v_fma_f64 v[154:155], v[72:73], s[8:9], -v[148:149]
	v_add_f64 v[130:131], v[150:151], v[130:131]
	v_mul_f64 v[150:151], v[112:113], s[48:49]
	s_mov_b32 s59, 0x3fe0d888
	s_mov_b32 s58, s46
	v_mul_f64 v[156:157], v[104:105], s[58:59]
	v_fma_f64 v[158:159], v[82:83], s[18:19], -v[144:145]
	ds_write2_b64 v94, v[120:121], v[118:119] offset1:1
	v_add_f64 v[118:119], v[152:153], v[140:141]
	v_fma_f64 v[120:121], v[78:79], s[22:23], -v[146:147]
	v_mul_f64 v[140:141], v[108:109], s[44:45]
	v_add_f64 v[130:131], v[154:155], v[130:131]
	v_fma_f64 v[152:153], v[68:69], s[6:7], -v[150:151]
	v_mul_f64 v[154:155], v[114:115], s[50:51]
	v_mul_f64 v[164:165], v[110:111], s[58:59]
	v_add_f64 v[158:159], v[158:159], v[48:49]
	v_fma_f64 v[160:161], v[80:81], s[24:25], -v[156:157]
	v_add_f64 v[118:119], v[120:121], v[118:119]
	v_fma_f64 v[120:121], v[76:77], s[26:27], -v[140:141]
	v_mul_f64 v[162:163], v[106:107], s[36:37]
	v_add_f64 v[130:131], v[152:153], v[130:131]
	v_fma_f64 v[152:153], v[70:71], s[16:17], -v[154:155]
	v_mul_f64 v[170:171], v[112:113], s[54:55]
	v_mul_f64 v[166:167], v[116:117], s[46:47]
	v_add_f64 v[158:159], v[160:161], v[158:159]
	v_mul_f64 v[168:169], v[108:109], s[52:53]
	v_add_f64 v[118:119], v[120:121], v[118:119]
	v_fma_f64 v[120:121], v[72:73], s[24:25], -v[164:165]
	v_fma_f64 v[160:161], v[78:79], s[8:9], -v[162:163]
	v_add_f64 v[130:131], v[152:153], v[130:131]
	v_mul_f64 v[152:153], v[102:103], s[50:51]
	v_mul_f64 v[176:177], v[114:115], s[30:31]
	;; [unrolled: 1-line block ×3, first 2 shown]
	v_fma_f64 v[172:173], v[74:75], s[24:25], -v[166:167]
	v_mul_f64 v[174:175], v[110:111], s[44:45]
	v_add_f64 v[118:119], v[120:121], v[118:119]
	v_fma_f64 v[120:121], v[68:69], s[18:19], -v[170:171]
	v_add_f64 v[158:159], v[160:161], v[158:159]
	v_fma_f64 v[178:179], v[82:83], s[16:17], -v[152:153]
	v_fma_f64 v[160:161], v[76:77], s[14:15], -v[168:169]
	;; [unrolled: 1-line block ×3, first 2 shown]
	v_mul_f64 v[184:185], v[106:107], s[54:55]
	v_add_f64 v[130:131], v[172:173], v[130:131]
	v_mul_f64 v[172:173], v[112:113], s[28:29]
	v_add_f64 v[118:119], v[120:121], v[118:119]
	v_fma_f64 v[120:121], v[70:71], s[14:15], -v[176:177]
	v_add_f64 v[178:179], v[178:179], v[48:49]
	v_add_f64 v[158:159], v[160:161], v[158:159]
	v_fma_f64 v[160:161], v[72:73], s[26:27], -v[174:175]
	v_mul_f64 v[186:187], v[116:117], s[42:43]
	v_mul_f64 v[190:191], v[108:109], s[42:43]
	;; [unrolled: 1-line block ×4, first 2 shown]
	v_add_f64 v[118:119], v[120:121], v[118:119]
	v_mul_f64 v[120:121], v[102:103], s[46:47]
	v_add_f64 v[178:179], v[182:183], v[178:179]
	v_fma_f64 v[182:183], v[78:79], s[18:19], -v[184:185]
	v_add_f64 v[158:159], v[160:161], v[158:159]
	v_fma_f64 v[160:161], v[68:69], s[16:17], -v[172:173]
	v_fma_f64 v[192:193], v[74:75], s[6:7], -v[186:187]
	v_mul_f64 v[200:201], v[110:111], s[52:53]
	v_mul_f64 v[194:195], v[116:117], s[38:39]
	v_fma_f64 v[196:197], v[82:83], s[24:25], -v[120:121]
	v_mul_f64 v[202:203], v[106:107], s[50:51]
	v_add_f64 v[178:179], v[182:183], v[178:179]
	v_fma_f64 v[182:183], v[76:77], s[6:7], -v[190:191]
	v_add_f64 v[158:159], v[160:161], v[158:159]
	v_fma_f64 v[160:161], v[70:71], s[6:7], -v[188:189]
	v_add_f64 v[118:119], v[192:193], v[118:119]
	v_mul_f64 v[206:207], v[112:113], s[46:47]
	v_add_f64 v[192:193], v[196:197], v[48:49]
	v_fma_f64 v[196:197], v[80:81], s[14:15], -v[198:199]
	s_mov_b32 s51, 0x3fe9895b
	v_add_f64 v[178:179], v[182:183], v[178:179]
	v_fma_f64 v[182:183], v[72:73], s[14:15], -v[200:201]
	s_mov_b32 s50, s38
	v_add_f64 v[158:159], v[160:161], v[158:159]
	v_fma_f64 v[160:161], v[74:75], s[22:23], -v[194:195]
	v_mul_f64 v[204:205], v[102:103], s[38:39]
	v_add_f64 v[192:193], v[196:197], v[192:193]
	v_fma_f64 v[196:197], v[78:79], s[16:17], -v[202:203]
	v_mul_f64 v[208:209], v[108:109], s[50:51]
	;; [unrolled: 3-line block ×7, first 2 shown]
	v_mul_f64 v[102:103], v[102:103], s[44:45]
	v_add_f64 v[192:193], v[196:197], v[192:193]
	v_fma_f64 v[196:197], v[72:73], s[6:7], -v[214:215]
	v_add_f64 v[178:179], v[182:183], v[178:179]
	v_mul_f64 v[182:183], v[112:113], s[44:45]
	v_fma_f64 v[226:227], v[74:75], s[8:9], -v[220:221]
	v_add_f64 v[160:161], v[216:217], v[160:161]
	v_fma_f64 v[216:217], v[78:79], s[6:7], -v[218:219]
	v_mul_f64 v[222:223], v[108:109], s[46:47]
	v_fma_f64 v[224:225], v[82:83], s[26:27], v[102:103]
	v_mul_f64 v[104:105], v[104:105], s[42:43]
	v_add_f64 v[192:193], v[196:197], v[192:193]
	v_fma_f64 v[228:229], v[68:69], s[26:27], -v[182:183]
	v_add_f64 v[178:179], v[226:227], v[178:179]
	v_mul_f64 v[226:227], v[114:115], s[36:37]
	v_add_f64 v[160:161], v[216:217], v[160:161]
	v_fma_f64 v[196:197], v[76:77], s[24:25], -v[222:223]
	v_mul_f64 v[216:217], v[110:111], s[28:29]
	v_add_f64 v[224:225], v[224:225], v[48:49]
	v_fma_f64 v[230:231], v[80:81], s[6:7], v[104:105]
	v_mul_f64 v[106:107], v[106:107], s[46:47]
	v_add_f64 v[192:193], v[228:229], v[192:193]
	v_fma_f64 v[232:233], v[70:71], s[8:9], -v[226:227]
	v_mul_f64 v[234:235], v[116:117], s[34:35]
	v_fma_f64 v[102:103], v[82:83], s[26:27], -v[102:103]
	v_add_f64 v[160:161], v[196:197], v[160:161]
	v_fma_f64 v[196:197], v[72:73], s[16:17], -v[216:217]
	v_mul_f64 v[228:229], v[112:113], s[40:41]
	v_add_f64 v[224:225], v[230:231], v[224:225]
	v_fma_f64 v[230:231], v[78:79], s[24:25], v[106:107]
	v_mul_f64 v[108:109], v[108:109], s[36:37]
	v_add_f64 v[192:193], v[232:233], v[192:193]
	v_fma_f64 v[104:105], v[80:81], s[6:7], -v[104:105]
	v_add_f64 v[102:103], v[102:103], v[48:49]
	v_fma_f64 v[232:233], v[74:75], s[18:19], -v[234:235]
	;; [unrolled: 2-line block ×3, first 2 shown]
	v_mul_f64 v[236:237], v[114:115], s[44:45]
	v_add_f64 v[224:225], v[230:231], v[224:225]
	v_fma_f64 v[230:231], v[76:77], s[8:9], v[108:109]
	v_mul_f64 v[110:111], v[110:111], s[38:39]
	v_fma_f64 v[120:121], v[82:83], s[24:25], v[120:121]
	v_add_f64 v[102:103], v[104:105], v[102:103]
	v_fma_f64 v[104:105], v[78:79], s[24:25], -v[106:107]
	v_add_f64 v[106:107], v[232:233], v[192:193]
	v_fma_f64 v[192:193], v[82:83], s[22:23], v[204:205]
	v_add_f64 v[160:161], v[196:197], v[160:161]
	v_fma_f64 v[196:197], v[70:71], s[26:27], -v[236:237]
	v_add_f64 v[224:225], v[230:231], v[224:225]
	v_fma_f64 v[230:231], v[72:73], s[22:23], v[110:111]
	v_mul_f64 v[112:113], v[112:113], s[30:31]
	v_fma_f64 v[198:199], v[80:81], s[14:15], v[198:199]
	v_add_f64 v[120:121], v[120:121], v[48:49]
	v_add_f64 v[102:103], v[104:105], v[102:103]
	v_fma_f64 v[104:105], v[76:77], s[8:9], -v[108:109]
	v_fma_f64 v[108:109], v[80:81], s[18:19], v[210:211]
	v_add_f64 v[192:193], v[192:193], v[48:49]
	v_add_f64 v[160:161], v[196:197], v[160:161]
	v_add_f64 v[196:197], v[230:231], v[224:225]
	v_fma_f64 v[204:205], v[68:69], s[14:15], v[112:113]
	v_mul_f64 v[114:115], v[114:115], s[34:35]
	v_add_f64 v[120:121], v[198:199], v[120:121]
	v_fma_f64 v[198:199], v[78:79], s[16:17], v[202:203]
	v_add_f64 v[102:103], v[104:105], v[102:103]
	v_fma_f64 v[104:105], v[72:73], s[22:23], -v[110:111]
	v_add_f64 v[108:109], v[108:109], v[192:193]
	v_fma_f64 v[110:111], v[78:79], s[6:7], v[218:219]
	v_mul_f64 v[210:211], v[116:117], s[30:31]
	v_add_f64 v[196:197], v[204:205], v[196:197]
	v_fma_f64 v[192:193], v[70:71], s[18:19], v[114:115]
	v_add_f64 v[120:121], v[198:199], v[120:121]
	v_fma_f64 v[198:199], v[76:77], s[22:23], v[208:209]
	v_add_f64 v[102:103], v[104:105], v[102:103]
	v_fma_f64 v[104:105], v[68:69], s[14:15], -v[112:113]
	v_add_f64 v[108:109], v[110:111], v[108:109]
	v_fma_f64 v[110:111], v[76:77], s[24:25], v[222:223]
	v_fma_f64 v[202:203], v[74:75], s[14:15], -v[210:211]
	v_add_f64 v[112:113], v[192:193], v[196:197]
	v_fma_f64 v[144:145], v[82:83], s[18:19], v[144:145]
	v_add_f64 v[120:121], v[198:199], v[120:121]
	v_fma_f64 v[196:197], v[72:73], s[6:7], v[214:215]
	v_add_f64 v[102:103], v[104:105], v[102:103]
	v_fma_f64 v[104:105], v[70:71], s[18:19], -v[114:115]
	v_add_f64 v[108:109], v[110:111], v[108:109]
	v_fma_f64 v[110:111], v[72:73], s[16:17], v[216:217]
	v_add_f64 v[114:115], v[202:203], v[160:161]
	v_fma_f64 v[156:157], v[80:81], s[24:25], v[156:157]
	v_add_f64 v[144:145], v[144:145], v[48:49]
	v_add_f64 v[120:121], v[196:197], v[120:121]
	v_fma_f64 v[160:161], v[68:69], s[26:27], v[182:183]
	v_add_f64 v[102:103], v[104:105], v[102:103]
	v_fma_f64 v[124:125], v[82:83], s[14:15], v[124:125]
	;; [unrolled: 2-line block ×3, first 2 shown]
	v_fma_f64 v[134:135], v[82:83], s[8:9], v[134:135]
	v_fma_f64 v[82:83], v[82:83], s[6:7], v[90:91]
	;; [unrolled: 1-line block ×3, first 2 shown]
	v_add_f64 v[144:145], v[156:157], v[144:145]
	v_fma_f64 v[152:153], v[78:79], s[8:9], v[162:163]
	v_add_f64 v[120:121], v[160:161], v[120:121]
	v_fma_f64 v[160:161], v[80:81], s[26:27], v[180:181]
	;; [unrolled: 2-line block ×5, first 2 shown]
	v_add_f64 v[48:49], v[82:83], v[48:49]
	v_add_f64 v[104:105], v[108:109], v[104:105]
	;; [unrolled: 1-line block ×4, first 2 shown]
	v_fma_f64 v[152:153], v[78:79], s[18:19], v[184:185]
	v_add_f64 v[90:91], v[122:123], v[124:125]
	v_fma_f64 v[122:123], v[78:79], s[26:27], v[128:129]
	v_add_f64 v[124:125], v[136:137], v[134:135]
	v_fma_f64 v[128:129], v[78:79], s[22:23], v[146:147]
	v_fma_f64 v[78:79], v[78:79], s[14:15], v[86:87]
	v_add_f64 v[48:49], v[80:81], v[48:49]
	v_fma_f64 v[82:83], v[76:77], s[6:7], v[190:191]
	v_add_f64 v[110:111], v[152:153], v[110:111]
	;; [unrolled: 2-line block ×4, first 2 shown]
	v_fma_f64 v[124:125], v[76:77], s[26:27], v[140:141]
	v_fma_f64 v[76:77], v[76:77], s[16:17], v[84:85]
	v_add_f64 v[48:49], v[78:79], v[48:49]
	v_add_f64 v[80:81], v[82:83], v[110:111]
	v_fma_f64 v[110:111], v[72:73], s[24:25], v[164:165]
	v_add_f64 v[108:109], v[144:145], v[108:109]
	v_add_f64 v[86:87], v[90:91], v[88:89]
	v_fma_f64 v[88:89], v[72:73], s[8:9], v[148:149]
	v_add_f64 v[90:91], v[124:125], v[122:123]
	v_fma_f64 v[128:129], v[72:73], s[26:27], v[174:175]
	v_fma_f64 v[82:83], v[72:73], s[14:15], v[200:201]
	;; [unrolled: 1-line block ×3, first 2 shown]
	v_add_f64 v[48:49], v[76:77], v[48:49]
	v_fma_f64 v[76:77], v[68:69], s[6:7], v[150:151]
	v_fma_f64 v[84:85], v[68:69], s[16:17], v[172:173]
	v_add_f64 v[86:87], v[88:89], v[86:87]
	v_add_f64 v[88:89], v[110:111], v[90:91]
	v_fma_f64 v[90:91], v[68:69], s[18:19], v[170:171]
	v_add_f64 v[78:79], v[128:129], v[108:109]
	v_add_f64 v[80:81], v[82:83], v[80:81]
	v_fma_f64 v[82:83], v[68:69], s[24:25], v[206:207]
	v_fma_f64 v[68:69], v[68:69], s[22:23], v[126:127]
	v_add_f64 v[48:49], v[72:73], v[48:49]
	v_mul_f64 v[116:117], v[116:117], s[28:29]
	v_add_f64 v[72:73], v[76:77], v[86:87]
	v_add_f64 v[76:77], v[90:91], v[88:89]
	v_fma_f64 v[86:87], v[70:71], s[16:17], v[154:155]
	v_fma_f64 v[88:89], v[70:71], s[14:15], v[176:177]
	;; [unrolled: 1-line block ×4, first 2 shown]
	v_add_f64 v[78:79], v[84:85], v[78:79]
	v_fma_f64 v[84:85], v[70:71], s[6:7], v[188:189]
	v_add_f64 v[80:81], v[82:83], v[80:81]
	v_fma_f64 v[82:83], v[70:71], s[22:23], v[212:213]
	v_fma_f64 v[70:71], v[70:71], s[24:25], v[132:133]
	v_add_f64 v[48:49], v[68:69], v[48:49]
	v_fma_f64 v[192:193], v[74:75], s[16:17], v[116:117]
	v_add_f64 v[68:69], v[86:87], v[72:73]
	v_add_f64 v[72:73], v[88:89], v[76:77]
	v_fma_f64 v[76:77], v[74:75], s[16:17], -v[116:117]
	v_add_f64 v[90:91], v[156:157], v[120:121]
	v_add_f64 v[92:93], v[160:161], v[104:105]
	;; [unrolled: 1-line block ×4, first 2 shown]
	v_fma_f64 v[82:83], v[74:75], s[18:19], v[234:235]
	v_fma_f64 v[84:85], v[74:75], s[14:15], v[210:211]
	;; [unrolled: 1-line block ×7, first 2 shown]
	v_add_f64 v[48:49], v[70:71], v[48:49]
	v_add_f64 v[112:113], v[192:193], v[112:113]
	;; [unrolled: 1-line block ×10, first 2 shown]
	ds_write2_b64 v94, v[118:119], v[130:131] offset0:2 offset1:3
	ds_write2_b64 v94, v[178:179], v[158:159] offset0:4 offset1:5
	;; [unrolled: 1-line block ×7, first 2 shown]
	ds_write_b64 v94, v[48:49] offset:128
.LBB0_12:
	s_or_b64 exec, exec, s[2:3]
	s_waitcnt vmcnt(16)
	v_lshlrev_b32_e32 v48, 3, v98
	v_add_u32_e32 v112, 0, v48
	v_add_u32_e32 v105, v112, v99
	;; [unrolled: 1-line block ×8, first 2 shown]
	s_waitcnt vmcnt(0) lgkmcnt(0)
	s_barrier
	v_add3_u32 v104, 0, v99, v48
	ds_read2_b64 v[68:71], v109 offset0:76 offset1:144
	ds_read2_b64 v[80:83], v111 offset0:92 offset1:160
	;; [unrolled: 1-line block ×7, first 2 shown]
	ds_read_b64 v[102:103], v104
	ds_read_b64 v[48:49], v105 offset:8160
	s_waitcnt lgkmcnt(0)
	s_barrier
	s_and_saveexec_b64 s[2:3], s[0:1]
	s_cbranch_execz .LBB0_14
; %bb.13:
	v_add_f64 v[113:114], v[66:67], v[50:51]
	v_add_f64 v[52:53], v[64:65], -v[52:53]
	v_add_f64 v[56:57], v[60:61], -v[56:57]
	s_mov_b32 s26, 0x5d8e7cdc
	s_mov_b32 s42, 0x2a9d6da3
	;; [unrolled: 1-line block ×5, first 2 shown]
	v_add_f64 v[64:65], v[62:63], v[113:114]
	s_mov_b32 s24, 0x6c9a05f6
	s_mov_b32 s30, 0x4363dd80
	;; [unrolled: 1-line block ×7, first 2 shown]
	v_add_f64 v[64:65], v[46:47], v[64:65]
	s_mov_b32 s19, 0xbfeec746
	s_mov_b32 s25, 0xbfe9895b
	;; [unrolled: 1-line block ×4, first 2 shown]
	v_add_f64 v[66:67], v[66:67], v[54:55]
	v_mul_f64 v[113:114], v[52:53], s[42:43]
	v_mul_f64 v[115:116], v[52:53], s[44:45]
	v_add_f64 v[64:65], v[38:39], v[64:65]
	v_mul_f64 v[117:118], v[52:53], s[38:39]
	v_mul_f64 v[119:120], v[52:53], s[18:19]
	;; [unrolled: 1-line block ×4, first 2 shown]
	s_mov_b32 s16, 0x370991
	s_mov_b32 s8, 0x75d4884
	;; [unrolled: 1-line block ×3, first 2 shown]
	v_add_f64 v[64:65], v[26:27], v[64:65]
	s_mov_b32 s6, 0x3259b75e
	s_mov_b32 s14, 0xc61f0d01
	s_mov_b32 s22, 0x6ed5f1bb
	s_mov_b32 s28, 0x910ea3b9
	s_mov_b32 s34, 0x7faef3
	s_mov_b32 s17, 0x3fedd6d0
	s_mov_b32 s9, 0x3fe7a5f6
	v_add_f64 v[64:65], v[18:19], v[64:65]
	s_mov_b32 s1, 0x3fdc86fa
	s_mov_b32 s7, 0x3fb79ee6
	;; [unrolled: 1-line block ×6, first 2 shown]
	v_add_f64 v[62:63], v[62:63], v[58:59]
	v_add_f64 v[60:61], v[14:15], v[64:65]
	v_mul_f64 v[64:65], v[52:53], s[26:27]
	v_mul_f64 v[52:53], v[52:53], s[40:41]
	;; [unrolled: 1-line block ×6, first 2 shown]
	v_fma_f64 v[141:142], v[66:67], s[8:9], v[113:114]
	v_add_f64 v[60:61], v[6:7], v[60:61]
	v_fma_f64 v[139:140], v[66:67], s[16:17], v[64:65]
	v_fma_f64 v[64:65], v[66:67], s[16:17], -v[64:65]
	v_fma_f64 v[113:114], v[66:67], s[8:9], -v[113:114]
	v_fma_f64 v[143:144], v[66:67], s[0:1], v[115:116]
	v_fma_f64 v[115:116], v[66:67], s[0:1], -v[115:116]
	v_fma_f64 v[145:146], v[66:67], s[6:7], v[117:118]
	v_fma_f64 v[117:118], v[66:67], s[6:7], -v[117:118]
	v_add_f64 v[60:61], v[2:3], v[60:61]
	v_fma_f64 v[147:148], v[66:67], s[14:15], v[119:120]
	v_fma_f64 v[119:120], v[66:67], s[14:15], -v[119:120]
	v_fma_f64 v[149:150], v[66:67], s[22:23], v[121:122]
	v_fma_f64 v[121:122], v[66:67], s[22:23], -v[121:122]
	;; [unrolled: 2-line block ×3, first 2 shown]
	v_fma_f64 v[153:154], v[66:67], s[34:35], v[52:53]
	v_add_f64 v[60:61], v[10:11], v[60:61]
	v_fma_f64 v[52:53], v[66:67], s[34:35], -v[52:53]
	s_mov_b32 s53, 0x3fe0d888
	s_mov_b32 s51, 0x3feec746
	;; [unrolled: 1-line block ×6, first 2 shown]
	v_add_f64 v[60:61], v[22:23], v[60:61]
	v_mul_f64 v[133:134], v[56:57], s[52:53]
	v_mul_f64 v[135:136], v[56:57], s[50:51]
	;; [unrolled: 1-line block ×3, first 2 shown]
	v_fma_f64 v[66:67], v[62:63], s[8:9], v[125:126]
	v_fma_f64 v[155:156], v[62:63], s[6:7], v[127:128]
	v_fma_f64 v[127:128], v[62:63], s[6:7], -v[127:128]
	v_fma_f64 v[157:158], v[62:63], s[22:23], v[129:130]
	v_add_f64 v[60:61], v[30:31], v[60:61]
	v_fma_f64 v[129:130], v[62:63], s[22:23], -v[129:130]
	v_fma_f64 v[159:160], v[62:63], s[34:35], v[131:132]
	v_fma_f64 v[131:132], v[62:63], s[34:35], -v[131:132]
	v_add_f64 v[139:140], v[139:140], v[50:51]
	v_add_f64 v[64:65], v[64:65], v[50:51]
	;; [unrolled: 1-line block ×18, first 2 shown]
	v_add_f64 v[40:41], v[44:45], -v[40:41]
	s_mov_b32 s47, 0x3fd71e95
	v_add_f64 v[50:51], v[58:59], v[60:61]
	s_mov_b32 s46, s26
	v_add_f64 v[58:59], v[66:67], v[139:140]
	v_add_f64 v[66:67], v[127:128], v[113:114]
	;; [unrolled: 1-line block ×3, first 2 shown]
	v_fma_f64 v[127:128], v[62:63], s[28:29], -v[133:134]
	v_fma_f64 v[129:130], v[62:63], s[14:15], -v[135:136]
	v_mul_f64 v[56:57], v[56:57], s[46:47]
	v_add_f64 v[50:51], v[54:55], v[50:51]
	v_add_f64 v[54:55], v[131:132], v[117:118]
	v_fma_f64 v[131:132], v[62:63], s[0:1], v[137:138]
	v_add_f64 v[42:43], v[42:43], v[46:47]
	v_mul_f64 v[46:47], v[40:41], s[44:45]
	v_fma_f64 v[125:126], v[62:63], s[8:9], -v[125:126]
	v_fma_f64 v[161:162], v[62:63], s[28:29], v[133:134]
	v_fma_f64 v[44:45], v[62:63], s[14:15], v[135:136]
	v_fma_f64 v[133:134], v[62:63], s[0:1], -v[137:138]
	v_add_f64 v[119:120], v[127:128], v[119:120]
	v_add_f64 v[121:122], v[129:130], v[121:122]
	;; [unrolled: 1-line block ×3, first 2 shown]
	v_fma_f64 v[129:130], v[62:63], s[16:17], v[56:57]
	v_fma_f64 v[56:57], v[62:63], s[16:17], -v[56:57]
	v_fma_f64 v[62:63], v[42:43], s[0:1], v[46:47]
	v_mul_f64 v[131:132], v[40:41], s[24:25]
	s_mov_b32 s49, 0x3fc7851a
	s_mov_b32 s48, s40
	v_add_f64 v[60:61], v[125:126], v[64:65]
	v_add_f64 v[64:65], v[155:156], v[141:142]
	;; [unrolled: 1-line block ×3, first 2 shown]
	v_mul_f64 v[133:134], v[40:41], s[48:49]
	v_add_f64 v[52:53], v[56:57], v[52:53]
	v_add_f64 v[56:57], v[62:63], v[58:59]
	v_fma_f64 v[46:47], v[42:43], s[0:1], -v[46:47]
	v_fma_f64 v[58:59], v[42:43], s[22:23], v[131:132]
	v_mul_f64 v[62:63], v[40:41], s[50:51]
	v_fma_f64 v[131:132], v[42:43], s[22:23], -v[131:132]
	s_mov_b32 s49, 0x3fe58eea
	s_mov_b32 s48, s42
	v_add_f64 v[113:114], v[157:158], v[143:144]
	v_add_f64 v[125:126], v[159:160], v[145:146]
	v_fma_f64 v[135:136], v[42:43], s[34:35], v[133:134]
	v_mul_f64 v[137:138], v[40:41], s[48:49]
	v_add_f64 v[46:47], v[46:47], v[60:61]
	v_fma_f64 v[60:61], v[42:43], s[34:35], -v[133:134]
	v_fma_f64 v[133:134], v[42:43], s[14:15], v[62:63]
	v_add_f64 v[58:59], v[58:59], v[64:65]
	v_add_f64 v[64:65], v[131:132], v[66:67]
	v_fma_f64 v[62:63], v[42:43], s[14:15], -v[62:63]
	v_mul_f64 v[131:132], v[40:41], s[26:27]
	v_add_f64 v[117:118], v[161:162], v[147:148]
	v_add_f64 v[44:45], v[44:45], v[149:150]
	;; [unrolled: 1-line block ×3, first 2 shown]
	v_fma_f64 v[113:114], v[42:43], s[8:9], v[137:138]
	v_add_f64 v[60:61], v[60:61], v[115:116]
	v_add_f64 v[115:116], v[133:134], v[125:126]
	v_mul_f64 v[125:126], v[40:41], s[38:39]
	v_add_f64 v[54:55], v[62:63], v[54:55]
	v_add_f64 v[32:33], v[36:37], -v[32:33]
	v_fma_f64 v[62:63], v[42:43], s[16:17], v[131:132]
	v_mul_f64 v[40:41], v[40:41], s[30:31]
	v_fma_f64 v[133:134], v[42:43], s[8:9], -v[137:138]
	v_add_f64 v[36:37], v[113:114], v[117:118]
	v_fma_f64 v[113:114], v[42:43], s[16:17], -v[131:132]
	v_fma_f64 v[117:118], v[42:43], s[6:7], v[125:126]
	v_add_f64 v[34:35], v[34:35], v[38:39]
	v_mul_f64 v[38:39], v[32:33], s[38:39]
	v_fma_f64 v[125:126], v[42:43], s[6:7], -v[125:126]
	v_add_f64 v[44:45], v[62:63], v[44:45]
	v_fma_f64 v[62:63], v[42:43], s[28:29], v[40:41]
	v_fma_f64 v[40:41], v[42:43], s[28:29], -v[40:41]
	v_mul_f64 v[42:43], v[32:33], s[40:41]
	v_add_f64 v[129:130], v[129:130], v[153:154]
	v_add_f64 v[113:114], v[113:114], v[121:122]
	;; [unrolled: 1-line block ×3, first 2 shown]
	v_fma_f64 v[121:122], v[34:35], s[6:7], v[38:39]
	v_add_f64 v[123:124], v[125:126], v[123:124]
	v_mul_f64 v[125:126], v[32:33], s[50:51]
	v_fma_f64 v[38:39], v[34:35], s[6:7], -v[38:39]
	v_mul_f64 v[127:128], v[32:33], s[46:47]
	v_add_f64 v[40:41], v[40:41], v[52:53]
	v_fma_f64 v[52:53], v[34:35], s[34:35], v[42:43]
	v_add_f64 v[62:63], v[62:63], v[129:130]
	v_add_f64 v[56:57], v[121:122], v[56:57]
	v_fma_f64 v[42:43], v[34:35], s[34:35], -v[42:43]
	v_fma_f64 v[121:122], v[34:35], s[14:15], v[125:126]
	v_fma_f64 v[125:126], v[34:35], s[14:15], -v[125:126]
	v_add_f64 v[38:39], v[38:39], v[46:47]
	v_fma_f64 v[46:47], v[34:35], s[16:17], v[127:128]
	v_mul_f64 v[129:130], v[32:33], s[44:45]
	v_add_f64 v[52:53], v[52:53], v[58:59]
	v_mul_f64 v[58:59], v[32:33], s[30:31]
	s_mov_b32 s55, 0x3fe9895b
	s_mov_b32 s54, s24
	v_add_f64 v[119:120], v[133:134], v[119:120]
	v_add_f64 v[42:43], v[42:43], v[64:65]
	;; [unrolled: 1-line block ×4, first 2 shown]
	v_fma_f64 v[66:67], v[34:35], s[16:17], -v[127:128]
	v_add_f64 v[46:47], v[46:47], v[115:116]
	v_fma_f64 v[115:116], v[34:35], s[0:1], v[129:130]
	v_fma_f64 v[121:122], v[34:35], s[0:1], -v[129:130]
	v_fma_f64 v[125:126], v[34:35], s[28:29], v[58:59]
	v_mul_f64 v[127:128], v[32:33], s[54:55]
	v_mul_f64 v[32:33], v[32:33], s[48:49]
	v_add_f64 v[24:25], v[24:25], -v[28:29]
	v_fma_f64 v[58:59], v[34:35], s[28:29], -v[58:59]
	v_add_f64 v[54:55], v[66:67], v[54:55]
	v_add_f64 v[36:37], v[115:116], v[36:37]
	;; [unrolled: 1-line block ×4, first 2 shown]
	v_fma_f64 v[66:67], v[34:35], s[22:23], v[127:128]
	v_fma_f64 v[115:116], v[34:35], s[22:23], -v[127:128]
	v_fma_f64 v[119:120], v[34:35], s[8:9], v[32:33]
	v_mul_f64 v[30:31], v[24:25], s[18:19]
	v_fma_f64 v[32:33], v[34:35], s[8:9], -v[32:33]
	v_add_f64 v[34:35], v[58:59], v[113:114]
	v_mul_f64 v[58:59], v[24:25], s[52:53]
	v_mul_f64 v[113:114], v[24:25], s[48:49]
	v_add_f64 v[66:67], v[66:67], v[117:118]
	v_mul_f64 v[121:122], v[24:25], s[44:45]
	v_add_f64 v[62:63], v[119:120], v[62:63]
	v_fma_f64 v[117:118], v[26:27], s[14:15], v[30:31]
	v_add_f64 v[32:33], v[32:33], v[40:41]
	v_fma_f64 v[30:31], v[26:27], s[14:15], -v[30:31]
	v_fma_f64 v[40:41], v[26:27], s[28:29], v[58:59]
	v_fma_f64 v[58:59], v[26:27], s[28:29], -v[58:59]
	v_fma_f64 v[119:120], v[26:27], s[8:9], v[113:114]
	v_fma_f64 v[113:114], v[26:27], s[8:9], -v[113:114]
	s_mov_b32 s45, 0x3fefdd0d
	v_add_f64 v[56:57], v[117:118], v[56:57]
	v_mul_f64 v[117:118], v[24:25], s[40:41]
	v_add_f64 v[30:31], v[30:31], v[38:39]
	v_add_f64 v[38:39], v[40:41], v[52:53]
	v_fma_f64 v[52:53], v[26:27], s[0:1], v[121:122]
	s_mov_b32 s44, s38
	v_add_f64 v[40:41], v[58:59], v[42:43]
	v_add_f64 v[42:43], v[119:120], v[64:65]
	;; [unrolled: 1-line block ×3, first 2 shown]
	v_fma_f64 v[60:61], v[26:27], s[0:1], -v[121:122]
	v_fma_f64 v[64:65], v[26:27], s[34:35], v[117:118]
	v_mul_f64 v[113:114], v[24:25], s[44:45]
	v_add_f64 v[46:47], v[52:53], v[46:47]
	v_mul_f64 v[52:53], v[24:25], s[26:27]
	v_add_f64 v[16:17], v[16:17], -v[20:21]
	v_mul_f64 v[20:21], v[24:25], s[24:25]
	v_add_f64 v[44:45], v[125:126], v[44:45]
	v_add_f64 v[54:55], v[60:61], v[54:55]
	;; [unrolled: 1-line block ×3, first 2 shown]
	v_fma_f64 v[24:25], v[26:27], s[6:7], v[113:114]
	v_fma_f64 v[60:61], v[26:27], s[6:7], -v[113:114]
	v_fma_f64 v[64:65], v[26:27], s[16:17], v[52:53]
	v_add_f64 v[18:19], v[18:19], v[22:23]
	v_mul_f64 v[22:23], v[16:17], s[24:25]
	v_fma_f64 v[113:114], v[26:27], s[22:23], v[20:21]
	v_fma_f64 v[20:21], v[26:27], s[22:23], -v[20:21]
	v_fma_f64 v[117:118], v[26:27], s[34:35], -v[117:118]
	;; [unrolled: 1-line block ×3, first 2 shown]
	v_add_f64 v[24:25], v[24:25], v[44:45]
	v_add_f64 v[26:27], v[60:61], v[34:35]
	;; [unrolled: 1-line block ×3, first 2 shown]
	v_mul_f64 v[44:45], v[16:17], s[50:51]
	v_fma_f64 v[60:61], v[18:19], s[22:23], v[22:23]
	v_mul_f64 v[64:65], v[16:17], s[26:27]
	v_add_f64 v[20:21], v[20:21], v[32:33]
	v_fma_f64 v[22:23], v[18:19], s[22:23], -v[22:23]
	v_mul_f64 v[32:33], v[16:17], s[30:31]
	v_add_f64 v[62:63], v[113:114], v[62:63]
	v_add_f64 v[8:9], v[12:13], -v[8:9]
	v_fma_f64 v[66:67], v[18:19], s[14:15], v[44:45]
	v_fma_f64 v[44:45], v[18:19], s[14:15], -v[44:45]
	v_add_f64 v[56:57], v[60:61], v[56:57]
	v_mul_f64 v[60:61], v[16:17], s[44:45]
	v_fma_f64 v[113:114], v[18:19], s[16:17], v[64:65]
	v_fma_f64 v[64:65], v[18:19], s[16:17], -v[64:65]
	v_add_f64 v[22:23], v[22:23], v[30:31]
	v_fma_f64 v[30:31], v[18:19], s[28:29], v[32:33]
	v_add_f64 v[115:116], v[115:116], v[123:124]
	v_add_f64 v[40:41], v[44:45], v[40:41]
	;; [unrolled: 1-line block ×3, first 2 shown]
	v_fma_f64 v[44:45], v[18:19], s[6:7], v[60:61]
	v_fma_f64 v[32:33], v[18:19], s[28:29], -v[32:33]
	v_add_f64 v[58:59], v[64:65], v[58:59]
	v_mul_f64 v[64:65], v[16:17], s[42:43]
	v_add_f64 v[30:31], v[30:31], v[46:47]
	v_fma_f64 v[46:47], v[18:19], s[6:7], -v[60:61]
	v_mul_f64 v[60:61], v[16:17], s[40:41]
	v_mul_f64 v[12:13], v[16:17], s[36:37]
	v_add_f64 v[36:37], v[44:45], v[36:37]
	v_add_f64 v[10:11], v[10:11], v[14:15]
	v_mul_f64 v[14:15], v[8:9], s[30:31]
	v_fma_f64 v[16:17], v[18:19], s[8:9], v[64:65]
	v_fma_f64 v[44:45], v[18:19], s[8:9], -v[64:65]
	v_add_f64 v[52:53], v[52:53], v[115:116]
	v_add_f64 v[32:33], v[32:33], v[54:55]
	;; [unrolled: 1-line block ×3, first 2 shown]
	v_fma_f64 v[46:47], v[18:19], s[34:35], v[60:61]
	v_fma_f64 v[54:55], v[18:19], s[34:35], -v[60:61]
	v_fma_f64 v[60:61], v[18:19], s[0:1], v[12:13]
	v_fma_f64 v[12:13], v[18:19], s[0:1], -v[12:13]
	v_add_f64 v[16:17], v[16:17], v[24:25]
	v_add_f64 v[24:25], v[44:45], v[26:27]
	v_mul_f64 v[26:27], v[8:9], s[36:37]
	v_fma_f64 v[44:45], v[10:11], s[28:29], v[14:15]
	v_add_f64 v[18:19], v[46:47], v[34:35]
	v_add_f64 v[34:35], v[54:55], v[52:53]
	v_mul_f64 v[52:53], v[8:9], s[38:39]
	v_fma_f64 v[14:15], v[10:11], s[28:29], -v[14:15]
	v_add_f64 v[12:13], v[12:13], v[20:21]
	v_mul_f64 v[20:21], v[8:9], s[54:55]
	v_add_f64 v[38:39], v[66:67], v[38:39]
	v_fma_f64 v[54:55], v[10:11], s[0:1], v[26:27]
	v_fma_f64 v[26:27], v[10:11], s[0:1], -v[26:27]
	v_add_f64 v[44:45], v[44:45], v[56:57]
	v_mul_f64 v[56:57], v[8:9], s[26:27]
	v_add_f64 v[46:47], v[60:61], v[62:63]
	v_fma_f64 v[60:61], v[10:11], s[6:7], v[52:53]
	v_add_f64 v[14:15], v[14:15], v[22:23]
	v_fma_f64 v[22:23], v[10:11], s[6:7], -v[52:53]
	v_fma_f64 v[52:53], v[10:11], s[22:23], v[20:21]
	v_add_f64 v[38:39], v[54:55], v[38:39]
	v_add_f64 v[26:27], v[26:27], v[40:41]
	v_fma_f64 v[20:21], v[10:11], s[22:23], -v[20:21]
	v_fma_f64 v[40:41], v[10:11], s[16:17], v[56:57]
	v_mul_f64 v[54:55], v[8:9], s[40:41]
	v_add_f64 v[0:1], v[4:5], -v[0:1]
	v_add_f64 v[2:3], v[2:3], v[6:7]
	v_add_f64 v[30:31], v[52:53], v[30:31]
	v_fma_f64 v[52:53], v[10:11], s[16:17], -v[56:57]
	v_mul_f64 v[56:57], v[8:9], s[48:49]
	v_add_f64 v[20:21], v[20:21], v[32:33]
	v_add_f64 v[32:33], v[40:41], v[36:37]
	v_fma_f64 v[4:5], v[10:11], s[34:35], v[54:55]
	v_fma_f64 v[36:37], v[10:11], s[34:35], -v[54:55]
	v_mul_f64 v[8:9], v[8:9], s[18:19]
	v_mul_f64 v[6:7], v[0:1], s[40:41]
	v_add_f64 v[28:29], v[52:53], v[28:29]
	v_fma_f64 v[40:41], v[10:11], s[8:9], v[56:57]
	v_fma_f64 v[52:53], v[10:11], s[8:9], -v[56:57]
	v_add_f64 v[42:43], v[113:114], v[42:43]
	v_add_f64 v[4:5], v[4:5], v[16:17]
	;; [unrolled: 1-line block ×3, first 2 shown]
	v_fma_f64 v[24:25], v[10:11], s[14:15], v[8:9]
	v_mul_f64 v[36:37], v[0:1], s[46:47]
	v_fma_f64 v[8:9], v[10:11], s[14:15], -v[8:9]
	v_add_f64 v[18:19], v[40:41], v[18:19]
	v_fma_f64 v[10:11], v[2:3], s[34:35], v[6:7]
	v_mul_f64 v[40:41], v[0:1], s[30:31]
	v_fma_f64 v[6:7], v[2:3], s[34:35], -v[6:7]
	v_add_f64 v[34:35], v[52:53], v[34:35]
	v_add_f64 v[24:25], v[24:25], v[46:47]
	v_fma_f64 v[46:47], v[2:3], s[16:17], v[36:37]
	v_fma_f64 v[36:37], v[2:3], s[16:17], -v[36:37]
	v_mul_f64 v[52:53], v[0:1], s[48:49]
	v_add_f64 v[42:43], v[60:61], v[42:43]
	v_add_f64 v[22:23], v[22:23], v[58:59]
	v_add_f64 v[8:9], v[8:9], v[12:13]
	v_fma_f64 v[12:13], v[2:3], s[28:29], v[40:41]
	v_add_f64 v[6:7], v[6:7], v[14:15]
	v_fma_f64 v[14:15], v[2:3], s[28:29], -v[40:41]
	v_add_f64 v[10:11], v[10:11], v[44:45]
	v_add_f64 v[26:27], v[36:37], v[26:27]
	v_fma_f64 v[36:37], v[2:3], s[8:9], v[52:53]
	v_mul_f64 v[44:45], v[0:1], s[24:25]
	v_fma_f64 v[40:41], v[2:3], s[8:9], -v[52:53]
	v_add_f64 v[12:13], v[12:13], v[42:43]
	v_mul_f64 v[42:43], v[0:1], s[36:37]
	v_add_f64 v[14:15], v[14:15], v[22:23]
	v_mul_f64 v[22:23], v[0:1], s[18:19]
	v_mul_f64 v[0:1], v[0:1], s[44:45]
	v_add_f64 v[30:31], v[36:37], v[30:31]
	v_fma_f64 v[36:37], v[2:3], s[22:23], v[44:45]
	v_add_f64 v[38:39], v[46:47], v[38:39]
	v_add_f64 v[20:21], v[40:41], v[20:21]
	v_fma_f64 v[40:41], v[2:3], s[22:23], -v[44:45]
	v_fma_f64 v[44:45], v[2:3], s[0:1], v[42:43]
	v_fma_f64 v[46:47], v[2:3], s[14:15], v[22:23]
	;; [unrolled: 1-line block ×3, first 2 shown]
	v_fma_f64 v[0:1], v[2:3], s[6:7], -v[0:1]
	v_fma_f64 v[42:43], v[2:3], s[0:1], -v[42:43]
	;; [unrolled: 1-line block ×3, first 2 shown]
	v_add_f64 v[22:23], v[36:37], v[32:33]
	v_add_f64 v[28:29], v[40:41], v[28:29]
	;; [unrolled: 1-line block ×8, first 2 shown]
	v_lshlrev_b32_e32 v8, 7, v98
	v_add3_u32 v8, v112, v8, v99
	ds_write2_b64 v8, v[50:51], v[10:11] offset1:1
	ds_write2_b64 v8, v[38:39], v[12:13] offset0:2 offset1:3
	ds_write2_b64 v8, v[30:31], v[22:23] offset0:4 offset1:5
	;; [unrolled: 1-line block ×7, first 2 shown]
	ds_write_b64 v8, v[6:7] offset:128
.LBB0_14:
	s_or_b64 exec, exec, s[2:3]
	s_movk_i32 s0, 0xf1
	v_add_u32_e32 v42, 0x44, v98
	v_mul_lo_u16_sdwa v0, v98, s0 dst_sel:DWORD dst_unused:UNUSED_PAD src0_sel:BYTE_0 src1_sel:DWORD
	v_lshrrev_b16_e32 v39, 12, v0
	v_mul_lo_u16_sdwa v9, v42, s0 dst_sel:DWORD dst_unused:UNUSED_PAD src0_sel:BYTE_0 src1_sel:DWORD
	v_mul_lo_u16_e32 v0, 17, v39
	v_lshrrev_b16_e32 v157, 12, v9
	v_sub_u16_e32 v156, v98, v0
	v_mov_b32_e32 v0, 3
	v_mul_lo_u16_e32 v9, 17, v157
	v_mul_u32_u24_sdwa v1, v156, v0 dst_sel:DWORD dst_unused:UNUSED_PAD src0_sel:BYTE_0 src1_sel:DWORD
	v_sub_u16_e32 v158, v42, v9
	v_lshlrev_b32_e32 v25, 4, v1
	v_mul_u32_u24_sdwa v9, v158, v0 dst_sel:DWORD dst_unused:UNUSED_PAD src0_sel:BYTE_0 src1_sel:DWORD
	s_load_dwordx2 s[2:3], s[4:5], 0x0
	s_waitcnt lgkmcnt(0)
	s_barrier
	global_load_dwordx4 v[1:4], v25, s[12:13] offset:16
	global_load_dwordx4 v[5:8], v25, s[12:13]
	v_lshlrev_b32_e32 v26, 4, v9
	global_load_dwordx4 v[9:12], v26, s[12:13] offset:32
	global_load_dwordx4 v[13:16], v26, s[12:13] offset:16
	;; [unrolled: 1-line block ×3, first 2 shown]
	global_load_dwordx4 v[21:24], v26, s[12:13]
	v_add_u32_e32 v41, 0x88, v98
	v_mul_lo_u16_sdwa v25, v41, s0 dst_sel:DWORD dst_unused:UNUSED_PAD src0_sel:BYTE_0 src1_sel:DWORD
	v_add_u32_e32 v40, 0xcc, v98
	v_lshrrev_b16_e32 v159, 12, v25
	s_mov_b32 s0, 0xf0f1
	v_mul_lo_u16_e32 v25, 17, v159
	v_mul_u32_u24_sdwa v161, v40, s0 dst_sel:DWORD dst_unused:UNUSED_PAD src0_sel:WORD_0 src1_sel:DWORD
	v_sub_u16_e32 v160, v41, v25
	v_lshrrev_b32_e32 v162, 20, v161
	v_mul_u32_u24_sdwa v25, v160, v0 dst_sel:DWORD dst_unused:UNUSED_PAD src0_sel:BYTE_0 src1_sel:DWORD
	v_mul_lo_u16_e32 v34, 17, v162
	v_lshlrev_b32_e32 v33, 4, v25
	v_sub_u16_e32 v163, v40, v34
	global_load_dwordx4 v[25:28], v33, s[12:13] offset:16
	global_load_dwordx4 v[29:32], v33, s[12:13]
	v_mul_u32_u24_e32 v37, 3, v163
	global_load_dwordx4 v[33:36], v33, s[12:13] offset:32
	v_lshlrev_b32_e32 v37, 4, v37
	global_load_dwordx4 v[43:46], v37, s[12:13]
	global_load_dwordx4 v[50:53], v37, s[12:13] offset:16
	global_load_dwordx4 v[54:57], v37, s[12:13] offset:32
	ds_read2_b64 v[58:61], v109 offset0:76 offset1:144
	ds_read2_b64 v[62:65], v111 offset0:92 offset1:160
	;; [unrolled: 1-line block ×7, first 2 shown]
	ds_read_b64 v[37:38], v104
	ds_read_b64 v[66:67], v105 offset:8160
	s_movk_i32 s4, 0x220
	v_mad_u32_u24 v39, v39, s4, 0
	s_waitcnt vmcnt(0) lgkmcnt(0)
	s_barrier
	s_movk_i32 s0, 0x79
	v_mul_f64 v[142:143], v[128:129], v[11:12]
	v_mul_f64 v[132:133], v[60:61], v[7:8]
	;; [unrolled: 1-line block ×12, first 2 shown]
	v_fma_f64 v[70:71], v[70:71], v[5:6], -v[132:133]
	v_fma_f64 v[5:6], v[60:61], v[5:6], v[7:8]
	v_fma_f64 v[7:8], v[82:83], v[1:2], -v[134:135]
	v_fma_f64 v[1:2], v[64:65], v[1:2], v[3:4]
	v_fma_f64 v[3:4], v[78:79], v[17:18], -v[136:137]
	v_fma_f64 v[17:18], v[114:115], v[17:18], v[19:20]
	v_fma_f64 v[19:20], v[84:85], v[21:22], -v[138:139]
	v_fma_f64 v[21:22], v[120:121], v[21:22], v[23:24]
	v_fma_f64 v[23:24], v[88:89], v[13:14], -v[140:141]
	v_fma_f64 v[13:14], v[124:125], v[13:14], v[15:16]
	v_fma_f64 v[15:16], v[92:93], v[9:10], -v[142:143]
	v_mul_f64 v[144:145], v[122:123], v[31:32]
	v_mul_f64 v[31:32], v[86:87], v[31:32]
	;; [unrolled: 1-line block ×8, first 2 shown]
	v_fma_f64 v[9:10], v[128:129], v[9:10], v[11:12]
	v_add_f64 v[7:8], v[102:103], -v[7:8]
	v_add_f64 v[1:2], v[37:38], -v[1:2]
	;; [unrolled: 1-line block ×6, first 2 shown]
	v_mul_f64 v[152:153], v[112:113], v[52:53]
	v_mul_f64 v[52:53], v[76:77], v[52:53]
	;; [unrolled: 1-line block ×3, first 2 shown]
	v_fma_f64 v[11:12], v[86:87], v[29:30], -v[144:145]
	v_fma_f64 v[29:30], v[122:123], v[29:30], v[31:32]
	v_fma_f64 v[31:32], v[90:91], v[25:26], -v[146:147]
	v_fma_f64 v[25:26], v[126:127], v[25:26], v[27:28]
	;; [unrolled: 2-line block ×4, first 2 shown]
	v_add_f64 v[13:14], v[116:117], -v[13:14]
	v_add_f64 v[9:10], v[21:22], -v[9:10]
	v_fma_f64 v[45:46], v[102:103], 2.0, -v[7:8]
	v_fma_f64 v[37:38], v[37:38], 2.0, -v[1:2]
	;; [unrolled: 1-line block ×4, first 2 shown]
	v_mul_f64 v[56:57], v[48:49], v[56:57]
	v_fma_f64 v[62:63], v[72:73], 2.0, -v[23:24]
	v_fma_f64 v[19:20], v[19:20], 2.0, -v[15:16]
	;; [unrolled: 1-line block ×4, first 2 shown]
	v_fma_f64 v[70:71], v[76:77], v[50:51], -v[152:153]
	v_fma_f64 v[50:51], v[112:113], v[50:51], v[52:53]
	v_add_f64 v[52:53], v[45:46], -v[60:61]
	v_add_f64 v[60:61], v[37:38], -v[5:6]
	v_fma_f64 v[5:6], v[48:49], v[54:55], -v[154:155]
	v_add_f64 v[72:73], v[1:2], v[3:4]
	v_add_f64 v[3:4], v[62:63], -v[19:20]
	v_fma_f64 v[19:20], v[66:67], v[54:55], v[56:57]
	v_add_f64 v[76:77], v[64:65], -v[21:22]
	v_add_f64 v[54:55], v[13:14], v[15:16]
	v_add_f64 v[15:16], v[74:75], -v[31:32]
	v_add_f64 v[25:26], v[118:119], -v[25:26]
	;; [unrolled: 1-line block ×8, first 2 shown]
	v_fma_f64 v[21:22], v[45:46], 2.0, -v[52:53]
	v_fma_f64 v[45:46], v[1:2], 2.0, -v[72:73]
	;; [unrolled: 1-line block ×10, first 2 shown]
	v_add_f64 v[17:18], v[7:8], -v[17:18]
	v_add_f64 v[9:10], v[23:24], -v[9:10]
	v_fma_f64 v[58:59], v[58:59], 2.0, -v[49:50]
	v_fma_f64 v[43:44], v[43:44], 2.0, -v[19:20]
	;; [unrolled: 1-line block ×3, first 2 shown]
	v_add_f64 v[11:12], v[56:57], -v[11:12]
	v_add_f64 v[29:30], v[62:63], -v[29:30]
	;; [unrolled: 1-line block ×3, first 2 shown]
	v_add_f64 v[31:32], v[25:26], v[27:28]
	v_add_f64 v[27:28], v[64:65], -v[35:36]
	v_add_f64 v[19:20], v[33:34], -v[19:20]
	v_fma_f64 v[7:8], v[7:8], 2.0, -v[17:18]
	v_fma_f64 v[23:24], v[23:24], 2.0, -v[9:10]
	v_add_f64 v[35:36], v[58:59], -v[43:44]
	v_add_f64 v[43:44], v[49:50], v[5:6]
	v_fma_f64 v[37:38], v[37:38], 2.0, -v[60:61]
	v_fma_f64 v[5:6], v[56:57], 2.0, -v[11:12]
	;; [unrolled: 1-line block ×7, first 2 shown]
	v_lshlrev_b32_sdwa v51, v0, v156 dst_sel:DWORD dst_unused:UNUSED_PAD src0_sel:DWORD src1_sel:BYTE_0
	v_add3_u32 v39, v39, v51, v99
	ds_write2_b64 v39, v[21:22], v[7:8] offset1:17
	ds_write2_b64 v39, v[52:53], v[17:18] offset0:34 offset1:51
	v_mad_u32_u24 v7, v157, s4, 0
	v_lshlrev_b32_sdwa v8, v0, v158 dst_sel:DWORD dst_unused:UNUSED_PAD src0_sel:DWORD src1_sel:BYTE_0
	v_add3_u32 v51, v7, v8, v99
	ds_write2_b64 v51, v[1:2], v[23:24] offset1:17
	ds_write2_b64 v51, v[3:4], v[9:10] offset0:34 offset1:51
	v_mad_u32_u24 v1, v159, s4, 0
	v_lshlrev_b32_sdwa v2, v0, v160 dst_sel:DWORD dst_unused:UNUSED_PAD src0_sel:DWORD src1_sel:BYTE_0
	v_fma_f64 v[58:59], v[58:59], 2.0, -v[35:36]
	v_fma_f64 v[49:50], v[49:50], 2.0, -v[43:44]
	v_add3_u32 v52, v1, v2, v99
	v_mad_u32_u24 v1, v162, s4, 0
	v_lshlrev_b32_e32 v2, 3, v163
	v_add3_u32 v53, v1, v2, v99
	ds_write2_b64 v52, v[5:6], v[15:16] offset1:17
	ds_write2_b64 v52, v[11:12], v[13:14] offset0:34 offset1:51
	ds_write2_b64 v53, v[25:26], v[33:34] offset1:17
	ds_write2_b64 v53, v[27:28], v[19:20] offset0:34 offset1:51
	s_waitcnt lgkmcnt(0)
	s_barrier
	ds_read2_b64 v[1:4], v109 offset0:76 offset1:144
	ds_read2_b64 v[5:8], v111 offset0:92 offset1:160
	;; [unrolled: 1-line block ×7, first 2 shown]
	ds_read_b64 v[102:103], v104
	ds_read_b64 v[116:117], v105 offset:8160
	s_waitcnt lgkmcnt(0)
	s_barrier
	ds_write2_b64 v39, v[37:38], v[45:46] offset1:17
	ds_write2_b64 v39, v[60:61], v[72:73] offset0:34 offset1:51
	ds_write2_b64 v51, v[47:48], v[66:67] offset1:17
	ds_write2_b64 v51, v[76:77], v[54:55] offset0:34 offset1:51
	ds_write2_b64 v52, v[56:57], v[62:63] offset1:17
	ds_write2_b64 v52, v[29:30], v[31:32] offset0:34 offset1:51
	ds_write2_b64 v53, v[58:59], v[49:50] offset1:17
	ds_write2_b64 v53, v[35:36], v[43:44] offset0:34 offset1:51
	v_mul_u32_u24_e32 v29, 3, v98
	v_lshlrev_b32_e32 v37, 4, v29
	s_waitcnt lgkmcnt(0)
	s_barrier
	global_load_dwordx4 v[29:32], v37, s[12:13] offset:816
	global_load_dwordx4 v[33:36], v37, s[12:13] offset:832
	;; [unrolled: 1-line block ×3, first 2 shown]
	v_mul_lo_u16_sdwa v37, v41, s0 dst_sel:DWORD dst_unused:UNUSED_PAD src0_sel:BYTE_0 src1_sel:DWORD
	v_lshrrev_b16_e32 v37, 13, v37
	v_mul_lo_u16_e32 v37, 0x44, v37
	v_sub_u16_e32 v39, v41, v37
	v_mul_u32_u24_sdwa v37, v39, v0 dst_sel:DWORD dst_unused:UNUSED_PAD src0_sel:BYTE_0 src1_sel:DWORD
	v_lshlrev_b32_e32 v37, 4, v37
	global_load_dwordx4 v[47:50], v37, s[12:13] offset:816
	global_load_dwordx4 v[51:54], v37, s[12:13] offset:848
	;; [unrolled: 1-line block ×3, first 2 shown]
	v_lshrrev_b32_e32 v37, 22, v161
	v_mul_lo_u16_e32 v37, 0x44, v37
	v_sub_u16_e32 v95, v40, v37
	v_mul_u32_u24_e32 v37, 3, v95
	v_lshlrev_b32_e32 v37, 4, v37
	global_load_dwordx4 v[59:62], v37, s[12:13] offset:816
	global_load_dwordx4 v[63:66], v37, s[12:13] offset:832
	;; [unrolled: 1-line block ×3, first 2 shown]
	ds_read2_b64 v[71:74], v109 offset0:76 offset1:144
	ds_read2_b64 v[75:78], v111 offset0:92 offset1:160
	;; [unrolled: 1-line block ×7, first 2 shown]
	ds_read_b64 v[128:129], v104
	ds_read_b64 v[130:131], v105 offset:8160
	v_lshlrev_b32_sdwa v0, v0, v39 dst_sel:DWORD dst_unused:UNUSED_PAD src0_sel:DWORD src1_sel:BYTE_0
	v_add3_u32 v0, 0, v0, v99
	s_waitcnt vmcnt(0) lgkmcnt(0)
	s_barrier
	v_mul_f64 v[37:38], v[73:74], v[31:32]
	v_mul_f64 v[118:119], v[3:4], v[31:32]
	;; [unrolled: 1-line block ×6, first 2 shown]
	v_fma_f64 v[3:4], v[3:4], v[29:30], -v[37:38]
	v_fma_f64 v[37:38], v[73:74], v[29:30], v[118:119]
	v_fma_f64 v[7:8], v[7:8], v[33:34], -v[120:121]
	v_fma_f64 v[73:74], v[77:78], v[33:34], v[122:123]
	v_fma_f64 v[77:78], v[81:82], v[43:44], v[126:127]
	v_mul_f64 v[81:82], v[87:88], v[31:32]
	v_mul_f64 v[118:119], v[91:92], v[35:36]
	;; [unrolled: 1-line block ×8, first 2 shown]
	v_fma_f64 v[17:18], v[17:18], v[29:30], -v[81:82]
	v_fma_f64 v[21:22], v[21:22], v[33:34], -v[118:119]
	v_fma_f64 v[25:26], v[25:26], v[43:44], -v[120:121]
	v_fma_f64 v[11:12], v[11:12], v[43:44], -v[124:125]
	v_fma_f64 v[29:30], v[87:88], v[29:30], v[31:32]
	v_fma_f64 v[31:32], v[91:92], v[33:34], v[35:36]
	;; [unrolled: 1-line block ×3, first 2 shown]
	v_fma_f64 v[19:20], v[19:20], v[47:48], -v[122:123]
	v_fma_f64 v[35:36], v[89:90], v[47:48], v[49:50]
	v_mul_f64 v[43:44], v[93:94], v[57:58]
	v_mul_f64 v[45:46], v[23:24], v[57:58]
	;; [unrolled: 1-line block ×7, first 2 shown]
	v_add_f64 v[21:22], v[13:14], -v[21:22]
	v_add_f64 v[25:26], v[17:18], -v[25:26]
	v_mul_f64 v[65:66], v[9:10], v[65:66]
	v_fma_f64 v[23:24], v[23:24], v[55:56], -v[43:44]
	v_fma_f64 v[43:44], v[93:94], v[55:56], v[45:46]
	v_fma_f64 v[27:28], v[27:28], v[51:52], -v[47:48]
	v_fma_f64 v[45:46], v[114:115], v[51:52], v[49:50]
	v_fma_f64 v[9:10], v[9:10], v[63:64], -v[61:62]
	v_add_f64 v[51:52], v[128:129], -v[73:74]
	v_add_f64 v[11:12], v[3:4], -v[11:12]
	v_fma_f64 v[13:14], v[13:14], 2.0, -v[21:22]
	v_fma_f64 v[17:18], v[17:18], 2.0, -v[25:26]
	v_mul_f64 v[61:62], v[130:131], v[69:70]
	v_fma_f64 v[49:50], v[79:80], v[63:64], v[65:66]
	v_mul_f64 v[63:64], v[116:117], v[69:70]
	v_fma_f64 v[5:6], v[5:6], v[59:60], -v[53:54]
	v_add_f64 v[31:32], v[83:84], -v[31:32]
	v_fma_f64 v[3:4], v[3:4], 2.0, -v[11:12]
	v_add_f64 v[65:66], v[51:52], v[11:12]
	v_add_f64 v[11:12], v[13:14], -v[17:18]
	v_fma_f64 v[17:18], v[116:117], v[67:68], -v[61:62]
	v_add_f64 v[7:8], v[102:103], -v[7:8]
	v_fma_f64 v[47:48], v[75:76], v[59:60], v[57:58]
	v_fma_f64 v[61:62], v[130:131], v[67:68], v[63:64]
	v_add_f64 v[53:54], v[37:38], -v[77:78]
	v_add_f64 v[23:24], v[15:16], -v[23:24]
	;; [unrolled: 1-line block ×6, first 2 shown]
	v_add_f64 v[63:64], v[31:32], v[25:26]
	v_add_f64 v[25:26], v[85:86], -v[43:44]
	v_add_f64 v[43:44], v[35:36], -v[45:46]
	v_fma_f64 v[55:56], v[102:103], 2.0, -v[7:8]
	v_add_f64 v[45:46], v[71:72], -v[49:50]
	v_add_f64 v[49:50], v[47:48], -v[61:62]
	v_fma_f64 v[57:58], v[128:129], 2.0, -v[51:52]
	v_fma_f64 v[37:38], v[37:38], 2.0, -v[53:54]
	;; [unrolled: 1-line block ×10, first 2 shown]
	v_add_f64 v[3:4], v[55:56], -v[3:4]
	v_add_f64 v[53:54], v[7:8], -v[53:54]
	v_fma_f64 v[67:68], v[71:72], 2.0, -v[45:46]
	v_fma_f64 v[47:48], v[47:48], 2.0, -v[49:50]
	v_add_f64 v[33:34], v[21:22], -v[33:34]
	v_add_f64 v[37:38], v[57:58], -v[37:38]
	;; [unrolled: 1-line block ×4, first 2 shown]
	v_add_f64 v[69:70], v[25:26], v[27:28]
	v_add_f64 v[5:6], v[1:2], -v[5:6]
	v_add_f64 v[27:28], v[9:10], -v[49:50]
	;; [unrolled: 1-line block ×4, first 2 shown]
	v_fma_f64 v[55:56], v[55:56], 2.0, -v[3:4]
	v_fma_f64 v[7:8], v[7:8], 2.0, -v[53:54]
	v_add_f64 v[47:48], v[67:68], -v[47:48]
	v_add_f64 v[49:50], v[45:46], v[17:18]
	v_fma_f64 v[13:14], v[13:14], 2.0, -v[11:12]
	v_fma_f64 v[21:22], v[21:22], 2.0, -v[33:34]
	;; [unrolled: 1-line block ×12, first 2 shown]
	ds_write2_b64 v105, v[55:56], v[7:8] offset1:68
	ds_write2_b64 v105, v[3:4], v[53:54] offset0:136 offset1:204
	ds_write2_b64 v107, v[13:14], v[21:22] offset0:16 offset1:84
	;; [unrolled: 1-line block ×3, first 2 shown]
	v_add_u32_e32 v33, 0x1000, v0
	v_lshlrev_b32_e32 v0, 3, v95
	v_fma_f64 v[67:68], v[67:68], 2.0, -v[47:48]
	v_fma_f64 v[45:46], v[45:46], 2.0, -v[49:50]
	v_add3_u32 v0, 0, v0, v99
	v_add_u32_e32 v34, 0x1800, v0
	v_mov_b32_e32 v99, 0
	ds_write2_b64 v33, v[15:16], v[17:18] offset0:32 offset1:100
	ds_write2_b64 v33, v[19:20], v[43:44] offset0:168 offset1:236
	;; [unrolled: 1-line block ×4, first 2 shown]
	s_waitcnt lgkmcnt(0)
	s_barrier
	ds_read2_b64 v[0:3], v111 offset0:92 offset1:160
	ds_read2_b64 v[4:7], v105 offset0:68 offset1:136
	;; [unrolled: 1-line block ×7, first 2 shown]
	ds_read_b64 v[87:88], v104
	ds_read_b64 v[89:90], v105 offset:8160
	s_waitcnt lgkmcnt(0)
	s_barrier
	ds_write2_b64 v105, v[57:58], v[51:52] offset1:68
	ds_write2_b64 v105, v[37:38], v[65:66] offset0:136 offset1:204
	ds_write2_b64 v107, v[59:60], v[31:32] offset0:16 offset1:84
	;; [unrolled: 1-line block ×7, first 2 shown]
	v_lshlrev_b64 v[28:29], 4, v[98:99]
	v_mov_b32_e32 v30, s13
	v_add_co_u32_e64 v28, s[0:1], s12, v28
	v_addc_co_u32_e64 v29, s[0:1], v30, v29, s[0:1]
	s_movk_i32 s0, 0x440
	v_add_co_u32_e64 v30, s[0:1], s0, v28
	v_addc_co_u32_e64 v31, s[0:1], 0, v29, s[0:1]
	s_movk_i32 s0, 0x880
	s_waitcnt lgkmcnt(0)
	s_barrier
	global_load_dwordx4 v[43:46], v[28:29], off offset:4080
	global_load_dwordx4 v[47:50], v[30:31], off offset:4080
	v_add_co_u32_e64 v34, s[0:1], s0, v28
	v_addc_co_u32_e64 v35, s[0:1], 0, v29, s[0:1]
	s_movk_i32 s0, 0xcc0
	v_add_co_u32_e64 v38, s[0:1], s0, v28
	v_addc_co_u32_e64 v39, s[0:1], 0, v29, s[0:1]
	global_load_dwordx4 v[51:54], v[34:35], off offset:4080
	global_load_dwordx4 v[55:58], v[38:39], off offset:4080
	ds_read2_b64 v[59:62], v111 offset0:92 offset1:160
	ds_read2_b64 v[63:66], v105 offset0:68 offset1:136
	;; [unrolled: 1-line block ×7, first 2 shown]
	ds_read_b64 v[32:33], v104
	ds_read_b64 v[36:37], v105 offset:8160
	s_waitcnt vmcnt(0) lgkmcnt(0)
	s_barrier
	v_mul_f64 v[91:92], v[61:62], v[45:46]
	v_mul_f64 v[93:94], v[2:3], v[45:46]
	;; [unrolled: 1-line block ×4, first 2 shown]
	v_fma_f64 v[2:3], v[2:3], v[43:44], -v[91:92]
	v_fma_f64 v[61:62], v[61:62], v[43:44], v[93:94]
	v_mul_f64 v[91:92], v[77:78], v[45:46]
	v_mul_f64 v[114:115], v[69:70], v[53:54]
	;; [unrolled: 1-line block ×5, first 2 shown]
	v_fma_f64 v[8:9], v[8:9], v[47:48], -v[102:103]
	v_fma_f64 v[67:68], v[67:68], v[47:48], v[112:113]
	v_mul_f64 v[45:46], v[18:19], v[45:46]
	v_mul_f64 v[49:50], v[24:25], v[49:50]
	;; [unrolled: 1-line block ×6, first 2 shown]
	v_fma_f64 v[10:11], v[10:11], v[51:52], -v[114:115]
	v_fma_f64 v[16:17], v[16:17], v[55:56], -v[118:119]
	;; [unrolled: 1-line block ×4, first 2 shown]
	v_fma_f64 v[69:70], v[69:70], v[51:52], v[116:117]
	v_fma_f64 v[43:44], v[77:78], v[43:44], v[45:46]
	;; [unrolled: 1-line block ×3, first 2 shown]
	v_fma_f64 v[26:27], v[26:27], v[51:52], -v[102:103]
	v_fma_f64 v[47:48], v[85:86], v[51:52], v[53:54]
	v_fma_f64 v[49:50], v[89:90], v[55:56], -v[112:113]
	v_add_f64 v[51:52], v[32:33], -v[61:62]
	v_mul_f64 v[57:58], v[89:90], v[57:58]
	v_add_f64 v[2:3], v[87:88], -v[2:3]
	v_add_f64 v[8:9], v[4:5], -v[8:9]
	;; [unrolled: 1-line block ×6, first 2 shown]
	v_fma_f64 v[75:76], v[75:76], v[55:56], v[120:121]
	v_add_f64 v[53:54], v[63:64], -v[67:68]
	v_fma_f64 v[67:68], v[32:33], 2.0, -v[51:52]
	v_add_f64 v[26:27], v[22:23], -v[26:27]
	v_add_f64 v[32:33], v[0:1], -v[49:50]
	v_fma_f64 v[36:37], v[36:37], v[55:56], v[57:58]
	v_fma_f64 v[61:62], v[87:88], 2.0, -v[2:3]
	v_fma_f64 v[4:5], v[4:5], 2.0, -v[8:9]
	;; [unrolled: 1-line block ×6, first 2 shown]
	v_add_f64 v[55:56], v[65:66], -v[69:70]
	v_add_f64 v[57:58], v[71:72], -v[75:76]
	v_fma_f64 v[22:23], v[22:23], 2.0, -v[26:27]
	v_fma_f64 v[0:1], v[0:1], 2.0, -v[32:33]
	v_add_f64 v[43:44], v[73:74], -v[43:44]
	v_add_f64 v[45:46], v[79:80], -v[45:46]
	v_add_f64 v[49:50], v[59:60], -v[36:37]
	ds_write2_b64 v105, v[61:62], v[4:5] offset1:68
	ds_write2_b64 v107, v[2:3], v[8:9] offset0:16 offset1:84
	ds_write2_b64 v105, v[6:7], v[12:13] offset0:136 offset1:204
	;; [unrolled: 1-line block ×7, first 2 shown]
	s_waitcnt lgkmcnt(0)
	s_barrier
	ds_read2_b64 v[8:11], v111 offset0:92 offset1:160
	ds_read2_b64 v[0:3], v105 offset0:68 offset1:136
	;; [unrolled: 1-line block ×7, first 2 shown]
	ds_read_b64 v[32:33], v104
	ds_read_b64 v[36:37], v105 offset:8160
	v_add_f64 v[47:48], v[81:82], -v[47:48]
	v_fma_f64 v[63:64], v[63:64], 2.0, -v[53:54]
	v_fma_f64 v[65:66], v[65:66], 2.0, -v[55:56]
	;; [unrolled: 1-line block ×6, first 2 shown]
	s_waitcnt lgkmcnt(0)
	v_fma_f64 v[75:76], v[81:82], 2.0, -v[47:48]
	s_barrier
	ds_write2_b64 v105, v[67:68], v[63:64] offset1:68
	ds_write2_b64 v107, v[51:52], v[53:54] offset0:16 offset1:84
	ds_write2_b64 v105, v[65:66], v[69:70] offset0:136 offset1:204
	;; [unrolled: 1-line block ×7, first 2 shown]
	s_waitcnt lgkmcnt(0)
	s_barrier
	s_and_saveexec_b64 s[0:1], vcc
	s_cbranch_execz .LBB0_16
; %bb.15:
	s_movk_i32 s0, 0x3000
	v_add_co_u32_e32 v59, vcc, s0, v28
	v_addc_co_u32_e32 v60, vcc, 0, v29, vcc
	s_movk_i32 s0, 0x2000
	v_add_co_u32_e32 v38, vcc, s0, v38
	v_addc_co_u32_e32 v39, vcc, 0, v39, vcc
	v_add_co_u32_e32 v34, vcc, s0, v34
	global_load_dwordx4 v[43:46], v[59:60], off offset:3760
	global_load_dwordx4 v[47:50], v[59:60], off offset:2672
	;; [unrolled: 1-line block ×4, first 2 shown]
	v_addc_co_u32_e32 v35, vcc, 0, v35, vcc
	global_load_dwordx4 v[59:62], v[38:39], off offset:240
	global_load_dwordx4 v[63:66], v[34:35], off offset:240
	v_add_co_u32_e32 v30, vcc, s0, v30
	v_addc_co_u32_e32 v31, vcc, 0, v31, vcc
	v_add_co_u32_e32 v28, vcc, s0, v28
	v_addc_co_u32_e32 v29, vcc, 0, v29, vcc
	global_load_dwordx4 v[67:70], v[30:31], off offset:240
	v_mul_lo_u32 v106, s3, v100
	global_load_dwordx4 v[28:31], v[28:29], off offset:240
	v_mul_lo_u32 v107, s2, v101
	v_mad_u64_u32 v[38:39], s[0:1], s2, v100, 0
	v_add_u32_e32 v75, 0xc00, v105
	v_add_u32_e32 v79, 0x800, v105
	;; [unrolled: 1-line block ×6, first 2 shown]
	ds_read2_b64 v[71:74], v105 offset0:68 offset1:136
	ds_read_b64 v[34:35], v105 offset:8160
	ds_read_b64 v[103:104], v104
	ds_read2_b64 v[75:78], v75 offset0:92 offset1:160
	ds_read2_b64 v[79:82], v79 offset0:84 offset1:152
	;; [unrolled: 1-line block ×6, first 2 shown]
	v_add3_u32 v39, v39, v107, v106
	v_add_u32_e32 v95, 0x110, v98
	v_add_u32_e32 v121, 0x154, v98
	;; [unrolled: 1-line block ×3, first 2 shown]
	s_mov_b32 s2, 0xf0f0f0f1
	v_add_u32_e32 v123, 0x1dc, v98
	s_waitcnt vmcnt(7) lgkmcnt(7)
	v_mul_f64 v[105:106], v[43:44], v[34:35]
	v_mul_f64 v[34:35], v[45:46], v[34:35]
	s_waitcnt vmcnt(6) lgkmcnt(3)
	v_mul_f64 v[107:108], v[47:48], v[85:86]
	s_waitcnt vmcnt(4) lgkmcnt(1)
	v_mul_f64 v[111:112], v[55:56], v[93:94]
	v_mul_f64 v[93:94], v[57:58], v[93:94]
	;; [unrolled: 1-line block ×3, first 2 shown]
	s_waitcnt vmcnt(2) lgkmcnt(0)
	v_mul_f64 v[115:116], v[63:64], v[101:102]
	v_mul_f64 v[109:110], v[51:52], v[83:84]
	;; [unrolled: 1-line block ×5, first 2 shown]
	v_fma_f64 v[34:35], v[36:37], v[43:44], -v[34:35]
	v_fma_f64 v[45:46], v[36:37], v[45:46], v[105:106]
	v_fma_f64 v[36:37], v[26:27], v[49:50], v[107:108]
	v_fma_f64 v[49:50], v[22:23], v[55:56], -v[93:94]
	s_waitcnt vmcnt(1)
	v_mul_f64 v[117:118], v[67:68], v[99:100]
	v_mul_f64 v[99:100], v[69:70], v[99:100]
	s_waitcnt vmcnt(0)
	v_mul_f64 v[119:120], v[28:29], v[77:78]
	v_mul_f64 v[77:78], v[30:31], v[77:78]
	v_fma_f64 v[55:56], v[18:19], v[65:66], v[115:116]
	v_mul_f64 v[83:84], v[53:54], v[83:84]
	v_fma_f64 v[26:27], v[26:27], v[47:48], -v[85:86]
	v_fma_f64 v[43:44], v[24:25], v[53:54], v[109:110]
	v_fma_f64 v[47:48], v[22:23], v[57:58], v[111:112]
	v_fma_f64 v[53:54], v[20:21], v[59:60], -v[91:92]
	v_fma_f64 v[57:58], v[18:19], v[63:64], -v[101:102]
	v_fma_f64 v[59:60], v[16:17], v[69:70], v[117:118]
	v_fma_f64 v[63:64], v[16:17], v[67:68], -v[99:100]
	v_fma_f64 v[67:68], v[10:11], v[28:29], -v[77:78]
	v_add_f64 v[16:17], v[8:9], -v[34:35]
	v_fma_f64 v[65:66], v[10:11], v[30:31], v[119:120]
	v_add_f64 v[10:11], v[73:74], -v[55:56]
	v_fma_f64 v[24:25], v[24:25], v[51:52], -v[83:84]
	v_fma_f64 v[51:52], v[20:21], v[61:62], v[113:114]
	v_add_f64 v[20:21], v[14:15], -v[26:27]
	v_add_f64 v[26:27], v[79:80], -v[43:44]
	v_add_f64 v[55:56], v[0:1], -v[63:64]
	v_fma_f64 v[43:44], v[8:9], 2.0, -v[16:17]
	v_add_f64 v[8:9], v[2:3], -v[57:58]
	v_add_f64 v[57:58], v[71:72], -v[59:60]
	;; [unrolled: 1-line block ×3, first 2 shown]
	v_fma_f64 v[61:62], v[73:74], 2.0, -v[10:11]
	v_mad_u64_u32 v[73:74], s[0:1], s20, v98, 0
	v_add_f64 v[18:19], v[75:76], -v[45:46]
	v_add_f64 v[65:66], v[103:104], -v[65:66]
	v_mov_b32_e32 v67, v74
	v_fma_f64 v[59:60], v[2:3], 2.0, -v[8:9]
	v_fma_f64 v[2:3], v[71:72], 2.0, -v[57:58]
	v_mad_u64_u32 v[71:72], s[0:1], s21, v98, v[67:68]
	v_fma_f64 v[67:68], v[32:33], 2.0, -v[63:64]
	v_lshlrev_b64 v[32:33], 4, v[38:39]
	v_mov_b32_e32 v38, s11
	v_add_co_u32_e32 v39, vcc, s10, v32
	v_addc_co_u32_e32 v38, vcc, v38, v33, vcc
	v_lshlrev_b64 v[32:33], 4, v[96:97]
	v_fma_f64 v[45:46], v[75:76], 2.0, -v[18:19]
	v_mov_b32_e32 v74, v71
	v_add_co_u32_e32 v75, vcc, v39, v32
	v_add_u32_e32 v71, 0x220, v98
	v_addc_co_u32_e32 v76, vcc, v38, v33, vcc
	v_mad_u64_u32 v[38:39], s[0:1], s20, v71, 0
	v_fma_f64 v[69:70], v[103:104], 2.0, -v[65:66]
	v_lshlrev_b64 v[32:33], 4, v[73:74]
	v_mad_u64_u32 v[71:72], s[0:1], s21, v71, v[39:40]
	v_mad_u64_u32 v[72:73], s[0:1], s20, v42, 0
	v_add_co_u32_e32 v32, vcc, v75, v32
	v_addc_co_u32_e32 v33, vcc, v76, v33, vcc
	v_mov_b32_e32 v39, v71
	global_store_dwordx4 v[32:33], v[67:70], off
	v_lshlrev_b64 v[32:33], 4, v[38:39]
	v_mov_b32_e32 v38, v73
	v_mad_u64_u32 v[38:39], s[0:1], s21, v42, v[38:39]
	v_add_u32_e32 v42, 0x264, v98
	v_fma_f64 v[0:1], v[0:1], 2.0, -v[55:56]
	v_mov_b32_e32 v73, v38
	v_mad_u64_u32 v[38:39], s[0:1], s20, v42, 0
	v_add_f64 v[34:35], v[4:5], -v[53:54]
	v_add_co_u32_e32 v32, vcc, v75, v32
	v_addc_co_u32_e32 v33, vcc, v76, v33, vcc
	global_store_dwordx4 v[32:33], v[63:66], off
	v_lshlrev_b64 v[32:33], 4, v[72:73]
	v_mad_u64_u32 v[63:64], s[0:1], s21, v42, v[39:40]
	v_mad_u64_u32 v[64:65], s[0:1], s20, v41, 0
	v_add_co_u32_e32 v32, vcc, v75, v32
	v_addc_co_u32_e32 v33, vcc, v76, v33, vcc
	global_store_dwordx4 v[32:33], v[0:3], off
	v_fma_f64 v[4:5], v[4:5], 2.0, -v[34:35]
	v_mov_b32_e32 v2, v65
	v_mad_u64_u32 v[2:3], s[0:1], s21, v41, v[2:3]
	v_add_u32_e32 v32, 0x2a8, v98
	v_mov_b32_e32 v39, v63
	v_mov_b32_e32 v65, v2
	v_mad_u64_u32 v[2:3], s[0:1], s20, v32, 0
	v_lshlrev_b64 v[0:1], 4, v[38:39]
	v_mad_u64_u32 v[38:39], s[0:1], s20, v40, 0
	v_add_co_u32_e32 v0, vcc, v75, v0
	v_addc_co_u32_e32 v1, vcc, v76, v1, vcc
	v_mad_u64_u32 v[32:33], s[0:1], s21, v32, v[3:4]
	global_store_dwordx4 v[0:1], v[55:58], off
	v_lshlrev_b64 v[0:1], 4, v[64:65]
	v_add_f64 v[22:23], v[81:82], -v[36:37]
	v_add_f64 v[28:29], v[6:7], -v[49:50]
	;; [unrolled: 1-line block ×3, first 2 shown]
	v_add_co_u32_e32 v0, vcc, v75, v0
	v_addc_co_u32_e32 v1, vcc, v76, v1, vcc
	v_mov_b32_e32 v3, v32
	global_store_dwordx4 v[0:1], v[59:62], off
	v_lshlrev_b64 v[0:1], 4, v[2:3]
	v_mov_b32_e32 v2, v39
	v_mad_u64_u32 v[2:3], s[0:1], s21, v40, v[2:3]
	v_add_co_u32_e32 v0, vcc, v75, v0
	v_addc_co_u32_e32 v1, vcc, v76, v1, vcc
	global_store_dwordx4 v[0:1], v[8:11], off
	v_mov_b32_e32 v39, v2
	v_add_u32_e32 v8, 0x2ec, v98
	v_mad_u64_u32 v[2:3], s[0:1], s20, v8, 0
	v_fma_f64 v[51:52], v[6:7], 2.0, -v[28:29]
	v_fma_f64 v[6:7], v[87:88], 2.0, -v[36:37]
	v_mad_u64_u32 v[8:9], s[0:1], s21, v8, v[3:4]
	v_lshlrev_b64 v[0:1], 4, v[38:39]
	v_mad_u64_u32 v[9:10], s[0:1], s20, v95, 0
	v_add_f64 v[30:31], v[89:90], -v[47:48]
	v_add_co_u32_e32 v0, vcc, v75, v0
	v_addc_co_u32_e32 v1, vcc, v76, v1, vcc
	v_mov_b32_e32 v3, v8
	global_store_dwordx4 v[0:1], v[4:7], off
	v_lshlrev_b64 v[0:1], 4, v[2:3]
	v_mov_b32_e32 v2, v10
	v_mad_u64_u32 v[2:3], s[0:1], s21, v95, v[2:3]
	v_add_u32_e32 v4, 0x330, v98
	v_fma_f64 v[53:54], v[89:90], 2.0, -v[30:31]
	v_mov_b32_e32 v10, v2
	v_mad_u64_u32 v[2:3], s[0:1], s20, v4, 0
	v_add_co_u32_e32 v0, vcc, v75, v0
	v_addc_co_u32_e32 v1, vcc, v76, v1, vcc
	v_mad_u64_u32 v[3:4], s[0:1], s21, v4, v[3:4]
	global_store_dwordx4 v[0:1], v[34:37], off
	v_lshlrev_b64 v[0:1], 4, v[9:10]
	v_mad_u64_u32 v[4:5], s[0:1], s20, v121, 0
	v_add_co_u32_e32 v0, vcc, v75, v0
	v_addc_co_u32_e32 v1, vcc, v76, v1, vcc
	v_add_f64 v[24:25], v[12:13], -v[24:25]
	global_store_dwordx4 v[0:1], v[51:54], off
	v_lshlrev_b64 v[0:1], 4, v[2:3]
	v_mov_b32_e32 v2, v5
	v_mad_u64_u32 v[2:3], s[0:1], s21, v121, v[2:3]
	v_add_co_u32_e32 v0, vcc, v75, v0
	v_addc_co_u32_e32 v1, vcc, v76, v1, vcc
	v_mov_b32_e32 v5, v2
	global_store_dwordx4 v[0:1], v[28:31], off
	v_lshlrev_b64 v[0:1], 4, v[4:5]
	v_add_u32_e32 v4, 0x374, v98
	v_mad_u64_u32 v[2:3], s[0:1], s20, v4, 0
	v_fma_f64 v[47:48], v[14:15], 2.0, -v[20:21]
	v_fma_f64 v[14:15], v[79:80], 2.0, -v[26:27]
	;; [unrolled: 1-line block ×3, first 2 shown]
	v_mad_u64_u32 v[3:4], s[0:1], s21, v4, v[3:4]
	v_mul_hi_u32 v4, v122, s2
	v_add_co_u32_e32 v0, vcc, v75, v0
	v_addc_co_u32_e32 v1, vcc, v76, v1, vcc
	global_store_dwordx4 v[0:1], v[12:15], off
	v_lshlrev_b64 v[0:1], 4, v[2:3]
	v_lshrrev_b32_e32 v2, 9, v4
	v_mad_u32_u24 v5, v2, s4, v122
	v_mad_u64_u32 v[2:3], s[0:1], s20, v5, 0
	v_add_u32_e32 v6, 0x220, v5
	v_add_co_u32_e32 v0, vcc, v75, v0
	v_mad_u64_u32 v[3:4], s[0:1], s21, v5, v[3:4]
	v_mad_u64_u32 v[4:5], s[0:1], s20, v6, 0
	v_fma_f64 v[49:50], v[81:82], 2.0, -v[22:23]
	v_addc_co_u32_e32 v1, vcc, v76, v1, vcc
	global_store_dwordx4 v[0:1], v[24:27], off
	v_lshlrev_b64 v[0:1], 4, v[2:3]
	v_mov_b32_e32 v2, v5
	v_mad_u64_u32 v[2:3], s[0:1], s21, v6, v[2:3]
	v_mul_hi_u32 v3, v123, s2
	v_add_co_u32_e32 v0, vcc, v75, v0
	v_addc_co_u32_e32 v1, vcc, v76, v1, vcc
	v_mov_b32_e32 v5, v2
	v_lshrrev_b32_e32 v2, 9, v3
	global_store_dwordx4 v[0:1], v[47:50], off
	v_lshlrev_b64 v[0:1], 4, v[4:5]
	v_mad_u32_u24 v5, v2, s4, v123
	v_mad_u64_u32 v[2:3], s[0:1], s20, v5, 0
	v_add_u32_e32 v6, 0x220, v5
	v_add_co_u32_e32 v0, vcc, v75, v0
	v_mad_u64_u32 v[3:4], s[0:1], s21, v5, v[3:4]
	v_mad_u64_u32 v[4:5], s[0:1], s20, v6, 0
	v_addc_co_u32_e32 v1, vcc, v76, v1, vcc
	global_store_dwordx4 v[0:1], v[20:23], off
	v_lshlrev_b64 v[0:1], 4, v[2:3]
	v_mov_b32_e32 v2, v5
	v_mad_u64_u32 v[2:3], s[0:1], s21, v6, v[2:3]
	v_add_co_u32_e32 v0, vcc, v75, v0
	v_addc_co_u32_e32 v1, vcc, v76, v1, vcc
	v_mov_b32_e32 v5, v2
	global_store_dwordx4 v[0:1], v[43:46], off
	v_lshlrev_b64 v[0:1], 4, v[4:5]
	v_add_co_u32_e32 v0, vcc, v75, v0
	v_addc_co_u32_e32 v1, vcc, v76, v1, vcc
	global_store_dwordx4 v[0:1], v[16:19], off
.LBB0_16:
	s_endpgm
	.section	.rodata,"a",@progbits
	.p2align	6, 0x0
	.amdhsa_kernel fft_rtc_fwd_len1088_factors_17_4_4_2_2_wgs_204_tpt_68_halfLds_dp_op_CI_CI_sbrr_dirReg
		.amdhsa_group_segment_fixed_size 0
		.amdhsa_private_segment_fixed_size 0
		.amdhsa_kernarg_size 104
		.amdhsa_user_sgpr_count 6
		.amdhsa_user_sgpr_private_segment_buffer 1
		.amdhsa_user_sgpr_dispatch_ptr 0
		.amdhsa_user_sgpr_queue_ptr 0
		.amdhsa_user_sgpr_kernarg_segment_ptr 1
		.amdhsa_user_sgpr_dispatch_id 0
		.amdhsa_user_sgpr_flat_scratch_init 0
		.amdhsa_user_sgpr_private_segment_size 0
		.amdhsa_uses_dynamic_stack 0
		.amdhsa_system_sgpr_private_segment_wavefront_offset 0
		.amdhsa_system_sgpr_workgroup_id_x 1
		.amdhsa_system_sgpr_workgroup_id_y 0
		.amdhsa_system_sgpr_workgroup_id_z 0
		.amdhsa_system_sgpr_workgroup_info 0
		.amdhsa_system_vgpr_workitem_id 0
		.amdhsa_next_free_vgpr 238
		.amdhsa_next_free_sgpr 60
		.amdhsa_reserve_vcc 1
		.amdhsa_reserve_flat_scratch 0
		.amdhsa_float_round_mode_32 0
		.amdhsa_float_round_mode_16_64 0
		.amdhsa_float_denorm_mode_32 3
		.amdhsa_float_denorm_mode_16_64 3
		.amdhsa_dx10_clamp 1
		.amdhsa_ieee_mode 1
		.amdhsa_fp16_overflow 0
		.amdhsa_exception_fp_ieee_invalid_op 0
		.amdhsa_exception_fp_denorm_src 0
		.amdhsa_exception_fp_ieee_div_zero 0
		.amdhsa_exception_fp_ieee_overflow 0
		.amdhsa_exception_fp_ieee_underflow 0
		.amdhsa_exception_fp_ieee_inexact 0
		.amdhsa_exception_int_div_zero 0
	.end_amdhsa_kernel
	.text
.Lfunc_end0:
	.size	fft_rtc_fwd_len1088_factors_17_4_4_2_2_wgs_204_tpt_68_halfLds_dp_op_CI_CI_sbrr_dirReg, .Lfunc_end0-fft_rtc_fwd_len1088_factors_17_4_4_2_2_wgs_204_tpt_68_halfLds_dp_op_CI_CI_sbrr_dirReg
                                        ; -- End function
	.section	.AMDGPU.csdata,"",@progbits
; Kernel info:
; codeLenInByte = 14696
; NumSgprs: 64
; NumVgprs: 238
; ScratchSize: 0
; MemoryBound: 1
; FloatMode: 240
; IeeeMode: 1
; LDSByteSize: 0 bytes/workgroup (compile time only)
; SGPRBlocks: 7
; VGPRBlocks: 59
; NumSGPRsForWavesPerEU: 64
; NumVGPRsForWavesPerEU: 238
; Occupancy: 1
; WaveLimiterHint : 1
; COMPUTE_PGM_RSRC2:SCRATCH_EN: 0
; COMPUTE_PGM_RSRC2:USER_SGPR: 6
; COMPUTE_PGM_RSRC2:TRAP_HANDLER: 0
; COMPUTE_PGM_RSRC2:TGID_X_EN: 1
; COMPUTE_PGM_RSRC2:TGID_Y_EN: 0
; COMPUTE_PGM_RSRC2:TGID_Z_EN: 0
; COMPUTE_PGM_RSRC2:TIDIG_COMP_CNT: 0
	.type	__hip_cuid_f138a7169f594a86,@object ; @__hip_cuid_f138a7169f594a86
	.section	.bss,"aw",@nobits
	.globl	__hip_cuid_f138a7169f594a86
__hip_cuid_f138a7169f594a86:
	.byte	0                               ; 0x0
	.size	__hip_cuid_f138a7169f594a86, 1

	.ident	"AMD clang version 19.0.0git (https://github.com/RadeonOpenCompute/llvm-project roc-6.4.0 25133 c7fe45cf4b819c5991fe208aaa96edf142730f1d)"
	.section	".note.GNU-stack","",@progbits
	.addrsig
	.addrsig_sym __hip_cuid_f138a7169f594a86
	.amdgpu_metadata
---
amdhsa.kernels:
  - .args:
      - .actual_access:  read_only
        .address_space:  global
        .offset:         0
        .size:           8
        .value_kind:     global_buffer
      - .offset:         8
        .size:           8
        .value_kind:     by_value
      - .actual_access:  read_only
        .address_space:  global
        .offset:         16
        .size:           8
        .value_kind:     global_buffer
      - .actual_access:  read_only
        .address_space:  global
        .offset:         24
        .size:           8
        .value_kind:     global_buffer
      - .actual_access:  read_only
        .address_space:  global
        .offset:         32
        .size:           8
        .value_kind:     global_buffer
      - .offset:         40
        .size:           8
        .value_kind:     by_value
      - .actual_access:  read_only
        .address_space:  global
        .offset:         48
        .size:           8
        .value_kind:     global_buffer
      - .actual_access:  read_only
        .address_space:  global
        .offset:         56
        .size:           8
        .value_kind:     global_buffer
      - .offset:         64
        .size:           4
        .value_kind:     by_value
      - .actual_access:  read_only
        .address_space:  global
        .offset:         72
        .size:           8
        .value_kind:     global_buffer
      - .actual_access:  read_only
        .address_space:  global
        .offset:         80
        .size:           8
        .value_kind:     global_buffer
      - .actual_access:  read_only
        .address_space:  global
        .offset:         88
        .size:           8
        .value_kind:     global_buffer
      - .actual_access:  write_only
        .address_space:  global
        .offset:         96
        .size:           8
        .value_kind:     global_buffer
    .group_segment_fixed_size: 0
    .kernarg_segment_align: 8
    .kernarg_segment_size: 104
    .language:       OpenCL C
    .language_version:
      - 2
      - 0
    .max_flat_workgroup_size: 204
    .name:           fft_rtc_fwd_len1088_factors_17_4_4_2_2_wgs_204_tpt_68_halfLds_dp_op_CI_CI_sbrr_dirReg
    .private_segment_fixed_size: 0
    .sgpr_count:     64
    .sgpr_spill_count: 0
    .symbol:         fft_rtc_fwd_len1088_factors_17_4_4_2_2_wgs_204_tpt_68_halfLds_dp_op_CI_CI_sbrr_dirReg.kd
    .uniform_work_group_size: 1
    .uses_dynamic_stack: false
    .vgpr_count:     238
    .vgpr_spill_count: 0
    .wavefront_size: 64
amdhsa.target:   amdgcn-amd-amdhsa--gfx906
amdhsa.version:
  - 1
  - 2
...

	.end_amdgpu_metadata
